;; amdgpu-corpus repo=ROCm/composable_kernel kind=compiled arch=gfx950 opt=O3
	.amdgcn_target "amdgcn-amd-amdhsa--gfx950"
	.amdhsa_code_object_version 6
	.section	.text._ZN2ckL12flush_icacheEv,"axG",@progbits,_ZN2ckL12flush_icacheEv,comdat
	.globl	_ZN2ckL12flush_icacheEv         ; -- Begin function _ZN2ckL12flush_icacheEv
	.p2align	8
	.type	_ZN2ckL12flush_icacheEv,@function
_ZN2ckL12flush_icacheEv:                ; @_ZN2ckL12flush_icacheEv
; %bb.0:
	;;#ASMSTART
	s_icache_inv 
	s_nop 0 
	s_nop 0 
	;; [unrolled: 1-line block ×16, first 2 shown]
	
	;;#ASMEND
	s_endpgm
	.section	.rodata,"a",@progbits
	.p2align	6, 0x0
	.amdhsa_kernel _ZN2ckL12flush_icacheEv
		.amdhsa_group_segment_fixed_size 0
		.amdhsa_private_segment_fixed_size 0
		.amdhsa_kernarg_size 0
		.amdhsa_user_sgpr_count 0
		.amdhsa_user_sgpr_dispatch_ptr 0
		.amdhsa_user_sgpr_queue_ptr 0
		.amdhsa_user_sgpr_kernarg_segment_ptr 0
		.amdhsa_user_sgpr_dispatch_id 0
		.amdhsa_user_sgpr_kernarg_preload_length 0
		.amdhsa_user_sgpr_kernarg_preload_offset 0
		.amdhsa_user_sgpr_private_segment_size 0
		.amdhsa_uses_dynamic_stack 0
		.amdhsa_enable_private_segment 0
		.amdhsa_system_sgpr_workgroup_id_x 1
		.amdhsa_system_sgpr_workgroup_id_y 0
		.amdhsa_system_sgpr_workgroup_id_z 0
		.amdhsa_system_sgpr_workgroup_info 0
		.amdhsa_system_vgpr_workitem_id 0
		.amdhsa_next_free_vgpr 1
		.amdhsa_next_free_sgpr 0
		.amdhsa_accum_offset 4
		.amdhsa_reserve_vcc 0
		.amdhsa_float_round_mode_32 0
		.amdhsa_float_round_mode_16_64 0
		.amdhsa_float_denorm_mode_32 3
		.amdhsa_float_denorm_mode_16_64 3
		.amdhsa_dx10_clamp 1
		.amdhsa_ieee_mode 1
		.amdhsa_fp16_overflow 0
		.amdhsa_tg_split 0
		.amdhsa_exception_fp_ieee_invalid_op 0
		.amdhsa_exception_fp_denorm_src 0
		.amdhsa_exception_fp_ieee_div_zero 0
		.amdhsa_exception_fp_ieee_overflow 0
		.amdhsa_exception_fp_ieee_underflow 0
		.amdhsa_exception_fp_ieee_inexact 0
		.amdhsa_exception_int_div_zero 0
	.end_amdhsa_kernel
	.section	.text._ZN2ckL12flush_icacheEv,"axG",@progbits,_ZN2ckL12flush_icacheEv,comdat
.Lfunc_end0:
	.size	_ZN2ckL12flush_icacheEv, .Lfunc_end0-_ZN2ckL12flush_icacheEv
                                        ; -- End function
	.set _ZN2ckL12flush_icacheEv.num_vgpr, 0
	.set _ZN2ckL12flush_icacheEv.num_agpr, 0
	.set _ZN2ckL12flush_icacheEv.numbered_sgpr, 0
	.set _ZN2ckL12flush_icacheEv.num_named_barrier, 0
	.set _ZN2ckL12flush_icacheEv.private_seg_size, 0
	.set _ZN2ckL12flush_icacheEv.uses_vcc, 0
	.set _ZN2ckL12flush_icacheEv.uses_flat_scratch, 0
	.set _ZN2ckL12flush_icacheEv.has_dyn_sized_stack, 0
	.set _ZN2ckL12flush_icacheEv.has_recursion, 0
	.set _ZN2ckL12flush_icacheEv.has_indirect_call, 0
	.section	.AMDGPU.csdata,"",@progbits
; Kernel info:
; codeLenInByte = 276
; TotalNumSgprs: 6
; NumVgprs: 0
; NumAgprs: 0
; TotalNumVgprs: 0
; ScratchSize: 0
; MemoryBound: 0
; FloatMode: 240
; IeeeMode: 1
; LDSByteSize: 0 bytes/workgroup (compile time only)
; SGPRBlocks: 0
; VGPRBlocks: 0
; NumSGPRsForWavesPerEU: 6
; NumVGPRsForWavesPerEU: 1
; AccumOffset: 4
; Occupancy: 8
; WaveLimiterHint : 0
; COMPUTE_PGM_RSRC2:SCRATCH_EN: 0
; COMPUTE_PGM_RSRC2:USER_SGPR: 0
; COMPUTE_PGM_RSRC2:TRAP_HANDLER: 0
; COMPUTE_PGM_RSRC2:TGID_X_EN: 1
; COMPUTE_PGM_RSRC2:TGID_Y_EN: 0
; COMPUTE_PGM_RSRC2:TGID_Z_EN: 0
; COMPUTE_PGM_RSRC2:TIDIG_COMP_CNT: 0
; COMPUTE_PGM_RSRC3_GFX90A:ACCUM_OFFSET: 0
; COMPUTE_PGM_RSRC3_GFX90A:TG_SPLIT: 0
	.section	.text._ZN2ck19kernel_gemm_dl_v1r3INS_28GridwiseGemmDl_km_kn_mn_v1r3ILi256EaiaLNS_25InMemoryDataOperationEnumE0ENS_16TensorDescriptorINS_5TupleIJNS_5EmbedINS4_IJiiEEENS4_IJNS_17integral_constantIiLi1EEEiEEELb0EEENS_7UnMergeINS4_IJiNS7_IiLi4EEEEEELb0EEENS_11PassThroughIiEEEEENS4_IJNS_8SequenceIJLi0EEEENSI_IJLi2EEEENSI_IJLi1EEEEEEENS4_IJNSI_IJLi1ELi2EEEENSI_IJLi3ELi4EEEENSI_IJLi5EEEEEEENSI_IJLi3ELi5ELi4EEEElEENS3_INS4_IJNS5_IS6_NS4_IJiS8_EEELb0EEESE_SG_EEENS4_IJSJ_SL_SK_EEESQ_SR_lEENS3_INS4_IJSU_SG_SG_EEESW_NS4_IJSN_NSI_IJLi3EEEENSI_IJLi4EEEEEEESO_lEELi128ELi128ELi16ELi4ELi4ELi4ELi1ENSI_IJLi8ELi2EEEES13_NSI_IJLi2ELi1ELi4ELi4EEEENSI_IJLi8ELi1ELi32ELi1EEEENSI_IJLi0ELi3ELi1ELi2EEEES16_NSI_IJLi1ELi1ELi4ELi1EEEES16_NSI_IJLi1ELi1ELi4ELi4EEEES14_S15_S16_S16_S17_S16_S18_NSI_IJLi0ELi1ELi2ELi3ELi4ELi5EEEELi5ELi4EEEaaNS3_INS4_IJSA_SE_SG_SG_NSB_INS4_IJiNS7_IiLi128EEEEEELb0EEENSF_ISC_EEEEENS4_IJSJ_SK_SL_SZ_SP_S10_EEENS4_IJSN_SO_SP_NSI_IJLi6EEEENSI_IJLi7ELi8EEEENSI_IJLi9EEEEEEENSI_IJLi6ELi7ELi8ELi9EEEElEENS3_INS4_IJSU_SE_SG_SG_S1D_S1E_EEENS4_IJSJ_SL_SK_SZ_SP_S10_EEES1K_S1L_lEENS3_INS4_IJSU_SG_SG_NSB_INS4_IJiNS7_IiLi2EEENS7_IiLi64EEEEEELb0EEES1T_EEENS4_IJSJ_SL_SK_SZ_S10_EEENS4_IJSN_SZ_S10_NSI_IJLi5ELi6ELi7EEEENSI_IJLi8ELi9ELi10EEEEEEENSI_IJLi5ELi6ELi7ELi8ELi9ELi10EEEElEENS_31BlockToCTileMap_M00_N00_M01_N01ILi128ELi128ES12_Lb0EEELb1ELb1EEEvPKT0_S25_PT1_T2_T3_T4_T5_,"axG",@progbits,_ZN2ck19kernel_gemm_dl_v1r3INS_28GridwiseGemmDl_km_kn_mn_v1r3ILi256EaiaLNS_25InMemoryDataOperationEnumE0ENS_16TensorDescriptorINS_5TupleIJNS_5EmbedINS4_IJiiEEENS4_IJNS_17integral_constantIiLi1EEEiEEELb0EEENS_7UnMergeINS4_IJiNS7_IiLi4EEEEEELb0EEENS_11PassThroughIiEEEEENS4_IJNS_8SequenceIJLi0EEEENSI_IJLi2EEEENSI_IJLi1EEEEEEENS4_IJNSI_IJLi1ELi2EEEENSI_IJLi3ELi4EEEENSI_IJLi5EEEEEEENSI_IJLi3ELi5ELi4EEEElEENS3_INS4_IJNS5_IS6_NS4_IJiS8_EEELb0EEESE_SG_EEENS4_IJSJ_SL_SK_EEESQ_SR_lEENS3_INS4_IJSU_SG_SG_EEESW_NS4_IJSN_NSI_IJLi3EEEENSI_IJLi4EEEEEEESO_lEELi128ELi128ELi16ELi4ELi4ELi4ELi1ENSI_IJLi8ELi2EEEES13_NSI_IJLi2ELi1ELi4ELi4EEEENSI_IJLi8ELi1ELi32ELi1EEEENSI_IJLi0ELi3ELi1ELi2EEEES16_NSI_IJLi1ELi1ELi4ELi1EEEES16_NSI_IJLi1ELi1ELi4ELi4EEEES14_S15_S16_S16_S17_S16_S18_NSI_IJLi0ELi1ELi2ELi3ELi4ELi5EEEELi5ELi4EEEaaNS3_INS4_IJSA_SE_SG_SG_NSB_INS4_IJiNS7_IiLi128EEEEEELb0EEENSF_ISC_EEEEENS4_IJSJ_SK_SL_SZ_SP_S10_EEENS4_IJSN_SO_SP_NSI_IJLi6EEEENSI_IJLi7ELi8EEEENSI_IJLi9EEEEEEENSI_IJLi6ELi7ELi8ELi9EEEElEENS3_INS4_IJSU_SE_SG_SG_S1D_S1E_EEENS4_IJSJ_SL_SK_SZ_SP_S10_EEES1K_S1L_lEENS3_INS4_IJSU_SG_SG_NSB_INS4_IJiNS7_IiLi2EEENS7_IiLi64EEEEEELb0EEES1T_EEENS4_IJSJ_SL_SK_SZ_S10_EEENS4_IJSN_SZ_S10_NSI_IJLi5ELi6ELi7EEEENSI_IJLi8ELi9ELi10EEEEEEENSI_IJLi5ELi6ELi7ELi8ELi9ELi10EEEElEENS_31BlockToCTileMap_M00_N00_M01_N01ILi128ELi128ES12_Lb0EEELb1ELb1EEEvPKT0_S25_PT1_T2_T3_T4_T5_,comdat
	.protected	_ZN2ck19kernel_gemm_dl_v1r3INS_28GridwiseGemmDl_km_kn_mn_v1r3ILi256EaiaLNS_25InMemoryDataOperationEnumE0ENS_16TensorDescriptorINS_5TupleIJNS_5EmbedINS4_IJiiEEENS4_IJNS_17integral_constantIiLi1EEEiEEELb0EEENS_7UnMergeINS4_IJiNS7_IiLi4EEEEEELb0EEENS_11PassThroughIiEEEEENS4_IJNS_8SequenceIJLi0EEEENSI_IJLi2EEEENSI_IJLi1EEEEEEENS4_IJNSI_IJLi1ELi2EEEENSI_IJLi3ELi4EEEENSI_IJLi5EEEEEEENSI_IJLi3ELi5ELi4EEEElEENS3_INS4_IJNS5_IS6_NS4_IJiS8_EEELb0EEESE_SG_EEENS4_IJSJ_SL_SK_EEESQ_SR_lEENS3_INS4_IJSU_SG_SG_EEESW_NS4_IJSN_NSI_IJLi3EEEENSI_IJLi4EEEEEEESO_lEELi128ELi128ELi16ELi4ELi4ELi4ELi1ENSI_IJLi8ELi2EEEES13_NSI_IJLi2ELi1ELi4ELi4EEEENSI_IJLi8ELi1ELi32ELi1EEEENSI_IJLi0ELi3ELi1ELi2EEEES16_NSI_IJLi1ELi1ELi4ELi1EEEES16_NSI_IJLi1ELi1ELi4ELi4EEEES14_S15_S16_S16_S17_S16_S18_NSI_IJLi0ELi1ELi2ELi3ELi4ELi5EEEELi5ELi4EEEaaNS3_INS4_IJSA_SE_SG_SG_NSB_INS4_IJiNS7_IiLi128EEEEEELb0EEENSF_ISC_EEEEENS4_IJSJ_SK_SL_SZ_SP_S10_EEENS4_IJSN_SO_SP_NSI_IJLi6EEEENSI_IJLi7ELi8EEEENSI_IJLi9EEEEEEENSI_IJLi6ELi7ELi8ELi9EEEElEENS3_INS4_IJSU_SE_SG_SG_S1D_S1E_EEENS4_IJSJ_SL_SK_SZ_SP_S10_EEES1K_S1L_lEENS3_INS4_IJSU_SG_SG_NSB_INS4_IJiNS7_IiLi2EEENS7_IiLi64EEEEEELb0EEES1T_EEENS4_IJSJ_SL_SK_SZ_S10_EEENS4_IJSN_SZ_S10_NSI_IJLi5ELi6ELi7EEEENSI_IJLi8ELi9ELi10EEEEEEENSI_IJLi5ELi6ELi7ELi8ELi9ELi10EEEElEENS_31BlockToCTileMap_M00_N00_M01_N01ILi128ELi128ES12_Lb0EEELb1ELb1EEEvPKT0_S25_PT1_T2_T3_T4_T5_ ; -- Begin function _ZN2ck19kernel_gemm_dl_v1r3INS_28GridwiseGemmDl_km_kn_mn_v1r3ILi256EaiaLNS_25InMemoryDataOperationEnumE0ENS_16TensorDescriptorINS_5TupleIJNS_5EmbedINS4_IJiiEEENS4_IJNS_17integral_constantIiLi1EEEiEEELb0EEENS_7UnMergeINS4_IJiNS7_IiLi4EEEEEELb0EEENS_11PassThroughIiEEEEENS4_IJNS_8SequenceIJLi0EEEENSI_IJLi2EEEENSI_IJLi1EEEEEEENS4_IJNSI_IJLi1ELi2EEEENSI_IJLi3ELi4EEEENSI_IJLi5EEEEEEENSI_IJLi3ELi5ELi4EEEElEENS3_INS4_IJNS5_IS6_NS4_IJiS8_EEELb0EEESE_SG_EEENS4_IJSJ_SL_SK_EEESQ_SR_lEENS3_INS4_IJSU_SG_SG_EEESW_NS4_IJSN_NSI_IJLi3EEEENSI_IJLi4EEEEEEESO_lEELi128ELi128ELi16ELi4ELi4ELi4ELi1ENSI_IJLi8ELi2EEEES13_NSI_IJLi2ELi1ELi4ELi4EEEENSI_IJLi8ELi1ELi32ELi1EEEENSI_IJLi0ELi3ELi1ELi2EEEES16_NSI_IJLi1ELi1ELi4ELi1EEEES16_NSI_IJLi1ELi1ELi4ELi4EEEES14_S15_S16_S16_S17_S16_S18_NSI_IJLi0ELi1ELi2ELi3ELi4ELi5EEEELi5ELi4EEEaaNS3_INS4_IJSA_SE_SG_SG_NSB_INS4_IJiNS7_IiLi128EEEEEELb0EEENSF_ISC_EEEEENS4_IJSJ_SK_SL_SZ_SP_S10_EEENS4_IJSN_SO_SP_NSI_IJLi6EEEENSI_IJLi7ELi8EEEENSI_IJLi9EEEEEEENSI_IJLi6ELi7ELi8ELi9EEEElEENS3_INS4_IJSU_SE_SG_SG_S1D_S1E_EEENS4_IJSJ_SL_SK_SZ_SP_S10_EEES1K_S1L_lEENS3_INS4_IJSU_SG_SG_NSB_INS4_IJiNS7_IiLi2EEENS7_IiLi64EEEEEELb0EEES1T_EEENS4_IJSJ_SL_SK_SZ_S10_EEENS4_IJSN_SZ_S10_NSI_IJLi5ELi6ELi7EEEENSI_IJLi8ELi9ELi10EEEEEEENSI_IJLi5ELi6ELi7ELi8ELi9ELi10EEEElEENS_31BlockToCTileMap_M00_N00_M01_N01ILi128ELi128ES12_Lb0EEELb1ELb1EEEvPKT0_S25_PT1_T2_T3_T4_T5_
	.globl	_ZN2ck19kernel_gemm_dl_v1r3INS_28GridwiseGemmDl_km_kn_mn_v1r3ILi256EaiaLNS_25InMemoryDataOperationEnumE0ENS_16TensorDescriptorINS_5TupleIJNS_5EmbedINS4_IJiiEEENS4_IJNS_17integral_constantIiLi1EEEiEEELb0EEENS_7UnMergeINS4_IJiNS7_IiLi4EEEEEELb0EEENS_11PassThroughIiEEEEENS4_IJNS_8SequenceIJLi0EEEENSI_IJLi2EEEENSI_IJLi1EEEEEEENS4_IJNSI_IJLi1ELi2EEEENSI_IJLi3ELi4EEEENSI_IJLi5EEEEEEENSI_IJLi3ELi5ELi4EEEElEENS3_INS4_IJNS5_IS6_NS4_IJiS8_EEELb0EEESE_SG_EEENS4_IJSJ_SL_SK_EEESQ_SR_lEENS3_INS4_IJSU_SG_SG_EEESW_NS4_IJSN_NSI_IJLi3EEEENSI_IJLi4EEEEEEESO_lEELi128ELi128ELi16ELi4ELi4ELi4ELi1ENSI_IJLi8ELi2EEEES13_NSI_IJLi2ELi1ELi4ELi4EEEENSI_IJLi8ELi1ELi32ELi1EEEENSI_IJLi0ELi3ELi1ELi2EEEES16_NSI_IJLi1ELi1ELi4ELi1EEEES16_NSI_IJLi1ELi1ELi4ELi4EEEES14_S15_S16_S16_S17_S16_S18_NSI_IJLi0ELi1ELi2ELi3ELi4ELi5EEEELi5ELi4EEEaaNS3_INS4_IJSA_SE_SG_SG_NSB_INS4_IJiNS7_IiLi128EEEEEELb0EEENSF_ISC_EEEEENS4_IJSJ_SK_SL_SZ_SP_S10_EEENS4_IJSN_SO_SP_NSI_IJLi6EEEENSI_IJLi7ELi8EEEENSI_IJLi9EEEEEEENSI_IJLi6ELi7ELi8ELi9EEEElEENS3_INS4_IJSU_SE_SG_SG_S1D_S1E_EEENS4_IJSJ_SL_SK_SZ_SP_S10_EEES1K_S1L_lEENS3_INS4_IJSU_SG_SG_NSB_INS4_IJiNS7_IiLi2EEENS7_IiLi64EEEEEELb0EEES1T_EEENS4_IJSJ_SL_SK_SZ_S10_EEENS4_IJSN_SZ_S10_NSI_IJLi5ELi6ELi7EEEENSI_IJLi8ELi9ELi10EEEEEEENSI_IJLi5ELi6ELi7ELi8ELi9ELi10EEEElEENS_31BlockToCTileMap_M00_N00_M01_N01ILi128ELi128ES12_Lb0EEELb1ELb1EEEvPKT0_S25_PT1_T2_T3_T4_T5_
	.p2align	8
	.type	_ZN2ck19kernel_gemm_dl_v1r3INS_28GridwiseGemmDl_km_kn_mn_v1r3ILi256EaiaLNS_25InMemoryDataOperationEnumE0ENS_16TensorDescriptorINS_5TupleIJNS_5EmbedINS4_IJiiEEENS4_IJNS_17integral_constantIiLi1EEEiEEELb0EEENS_7UnMergeINS4_IJiNS7_IiLi4EEEEEELb0EEENS_11PassThroughIiEEEEENS4_IJNS_8SequenceIJLi0EEEENSI_IJLi2EEEENSI_IJLi1EEEEEEENS4_IJNSI_IJLi1ELi2EEEENSI_IJLi3ELi4EEEENSI_IJLi5EEEEEEENSI_IJLi3ELi5ELi4EEEElEENS3_INS4_IJNS5_IS6_NS4_IJiS8_EEELb0EEESE_SG_EEENS4_IJSJ_SL_SK_EEESQ_SR_lEENS3_INS4_IJSU_SG_SG_EEESW_NS4_IJSN_NSI_IJLi3EEEENSI_IJLi4EEEEEEESO_lEELi128ELi128ELi16ELi4ELi4ELi4ELi1ENSI_IJLi8ELi2EEEES13_NSI_IJLi2ELi1ELi4ELi4EEEENSI_IJLi8ELi1ELi32ELi1EEEENSI_IJLi0ELi3ELi1ELi2EEEES16_NSI_IJLi1ELi1ELi4ELi1EEEES16_NSI_IJLi1ELi1ELi4ELi4EEEES14_S15_S16_S16_S17_S16_S18_NSI_IJLi0ELi1ELi2ELi3ELi4ELi5EEEELi5ELi4EEEaaNS3_INS4_IJSA_SE_SG_SG_NSB_INS4_IJiNS7_IiLi128EEEEEELb0EEENSF_ISC_EEEEENS4_IJSJ_SK_SL_SZ_SP_S10_EEENS4_IJSN_SO_SP_NSI_IJLi6EEEENSI_IJLi7ELi8EEEENSI_IJLi9EEEEEEENSI_IJLi6ELi7ELi8ELi9EEEElEENS3_INS4_IJSU_SE_SG_SG_S1D_S1E_EEENS4_IJSJ_SL_SK_SZ_SP_S10_EEES1K_S1L_lEENS3_INS4_IJSU_SG_SG_NSB_INS4_IJiNS7_IiLi2EEENS7_IiLi64EEEEEELb0EEES1T_EEENS4_IJSJ_SL_SK_SZ_S10_EEENS4_IJSN_SZ_S10_NSI_IJLi5ELi6ELi7EEEENSI_IJLi8ELi9ELi10EEEEEEENSI_IJLi5ELi6ELi7ELi8ELi9ELi10EEEElEENS_31BlockToCTileMap_M00_N00_M01_N01ILi128ELi128ES12_Lb0EEELb1ELb1EEEvPKT0_S25_PT1_T2_T3_T4_T5_,@function
_ZN2ck19kernel_gemm_dl_v1r3INS_28GridwiseGemmDl_km_kn_mn_v1r3ILi256EaiaLNS_25InMemoryDataOperationEnumE0ENS_16TensorDescriptorINS_5TupleIJNS_5EmbedINS4_IJiiEEENS4_IJNS_17integral_constantIiLi1EEEiEEELb0EEENS_7UnMergeINS4_IJiNS7_IiLi4EEEEEELb0EEENS_11PassThroughIiEEEEENS4_IJNS_8SequenceIJLi0EEEENSI_IJLi2EEEENSI_IJLi1EEEEEEENS4_IJNSI_IJLi1ELi2EEEENSI_IJLi3ELi4EEEENSI_IJLi5EEEEEEENSI_IJLi3ELi5ELi4EEEElEENS3_INS4_IJNS5_IS6_NS4_IJiS8_EEELb0EEESE_SG_EEENS4_IJSJ_SL_SK_EEESQ_SR_lEENS3_INS4_IJSU_SG_SG_EEESW_NS4_IJSN_NSI_IJLi3EEEENSI_IJLi4EEEEEEESO_lEELi128ELi128ELi16ELi4ELi4ELi4ELi1ENSI_IJLi8ELi2EEEES13_NSI_IJLi2ELi1ELi4ELi4EEEENSI_IJLi8ELi1ELi32ELi1EEEENSI_IJLi0ELi3ELi1ELi2EEEES16_NSI_IJLi1ELi1ELi4ELi1EEEES16_NSI_IJLi1ELi1ELi4ELi4EEEES14_S15_S16_S16_S17_S16_S18_NSI_IJLi0ELi1ELi2ELi3ELi4ELi5EEEELi5ELi4EEEaaNS3_INS4_IJSA_SE_SG_SG_NSB_INS4_IJiNS7_IiLi128EEEEEELb0EEENSF_ISC_EEEEENS4_IJSJ_SK_SL_SZ_SP_S10_EEENS4_IJSN_SO_SP_NSI_IJLi6EEEENSI_IJLi7ELi8EEEENSI_IJLi9EEEEEEENSI_IJLi6ELi7ELi8ELi9EEEElEENS3_INS4_IJSU_SE_SG_SG_S1D_S1E_EEENS4_IJSJ_SL_SK_SZ_SP_S10_EEES1K_S1L_lEENS3_INS4_IJSU_SG_SG_NSB_INS4_IJiNS7_IiLi2EEENS7_IiLi64EEEEEELb0EEES1T_EEENS4_IJSJ_SL_SK_SZ_S10_EEENS4_IJSN_SZ_S10_NSI_IJLi5ELi6ELi7EEEENSI_IJLi8ELi9ELi10EEEEEEENSI_IJLi5ELi6ELi7ELi8ELi9ELi10EEEElEENS_31BlockToCTileMap_M00_N00_M01_N01ILi128ELi128ES12_Lb0EEELb1ELb1EEEvPKT0_S25_PT1_T2_T3_T4_T5_: ; @_ZN2ck19kernel_gemm_dl_v1r3INS_28GridwiseGemmDl_km_kn_mn_v1r3ILi256EaiaLNS_25InMemoryDataOperationEnumE0ENS_16TensorDescriptorINS_5TupleIJNS_5EmbedINS4_IJiiEEENS4_IJNS_17integral_constantIiLi1EEEiEEELb0EEENS_7UnMergeINS4_IJiNS7_IiLi4EEEEEELb0EEENS_11PassThroughIiEEEEENS4_IJNS_8SequenceIJLi0EEEENSI_IJLi2EEEENSI_IJLi1EEEEEEENS4_IJNSI_IJLi1ELi2EEEENSI_IJLi3ELi4EEEENSI_IJLi5EEEEEEENSI_IJLi3ELi5ELi4EEEElEENS3_INS4_IJNS5_IS6_NS4_IJiS8_EEELb0EEESE_SG_EEENS4_IJSJ_SL_SK_EEESQ_SR_lEENS3_INS4_IJSU_SG_SG_EEESW_NS4_IJSN_NSI_IJLi3EEEENSI_IJLi4EEEEEEESO_lEELi128ELi128ELi16ELi4ELi4ELi4ELi1ENSI_IJLi8ELi2EEEES13_NSI_IJLi2ELi1ELi4ELi4EEEENSI_IJLi8ELi1ELi32ELi1EEEENSI_IJLi0ELi3ELi1ELi2EEEES16_NSI_IJLi1ELi1ELi4ELi1EEEES16_NSI_IJLi1ELi1ELi4ELi4EEEES14_S15_S16_S16_S17_S16_S18_NSI_IJLi0ELi1ELi2ELi3ELi4ELi5EEEELi5ELi4EEEaaNS3_INS4_IJSA_SE_SG_SG_NSB_INS4_IJiNS7_IiLi128EEEEEELb0EEENSF_ISC_EEEEENS4_IJSJ_SK_SL_SZ_SP_S10_EEENS4_IJSN_SO_SP_NSI_IJLi6EEEENSI_IJLi7ELi8EEEENSI_IJLi9EEEEEEENSI_IJLi6ELi7ELi8ELi9EEEElEENS3_INS4_IJSU_SE_SG_SG_S1D_S1E_EEENS4_IJSJ_SL_SK_SZ_SP_S10_EEES1K_S1L_lEENS3_INS4_IJSU_SG_SG_NSB_INS4_IJiNS7_IiLi2EEENS7_IiLi64EEEEEELb0EEES1T_EEENS4_IJSJ_SL_SK_SZ_S10_EEENS4_IJSN_SZ_S10_NSI_IJLi5ELi6ELi7EEEENSI_IJLi8ELi9ELi10EEEEEEENSI_IJLi5ELi6ELi7ELi8ELi9ELi10EEEElEENS_31BlockToCTileMap_M00_N00_M01_N01ILi128ELi128ES12_Lb0EEELb1ELb1EEEvPKT0_S25_PT1_T2_T3_T4_T5_
; %bb.0:
	s_load_dwordx4 s[24:27], s[0:1], 0x0
	s_load_dwordx2 s[12:13], s[0:1], 0x10
	s_load_dwordx8 s[4:11], s[0:1], 0x10c
	s_waitcnt lgkmcnt(0)
	s_load_dword s7, s[0:1], 0x24
	s_load_dword s28, s[0:1], 0x38
	;; [unrolled: 1-line block ×6, first 2 shown]
	s_load_dwordx2 s[14:15], s[0:1], 0xd0
	s_waitcnt lgkmcnt(0)
	s_load_dword s15, s[0:1], 0xec
	s_load_dwordx4 s[36:39], s[0:1], 0x130
	s_load_dword s16, s[0:1], 0xfc
	s_load_dwordx4 s[40:43], s[0:1], 0x108
	v_lshrrev_b32_e32 v1, 4, v0
	s_mul_hi_u32 s11, s11, s2
	s_add_i32 s11, s2, s11
	s_waitcnt lgkmcnt(0)
	s_lshr_b32 s1, s11, s39
	s_mul_hi_u32 s0, s1, s10
	s_add_i32 s0, s1, s0
	s_lshr_b32 s17, s0, s38
	s_mul_hi_u32 s0, s17, s9
	s_add_i32 s0, s17, s0
	;; [unrolled: 3-line block ×3, first 2 shown]
	s_lshr_b32 s8, s8, s36
	s_mul_i32 s8, s8, s40
	s_mul_i32 s4, s0, s4
	;; [unrolled: 1-line block ×3, first 2 shown]
	s_sub_i32 s0, s0, s8
	s_sub_i32 s8, s1, s9
	s_mul_i32 s0, s0, s15
	s_add_i32 s8, s8, s0
	v_lshlrev_b32_e32 v4, 2, v0
	v_and_b32_e32 v1, 14, v1
	v_and_b32_e32 v85, 0x7c, v4
	s_lshl_b32 s0, s8, 7
	v_or_b32_e32 v2, s0, v85
	v_lshlrev_b32_e32 v5, 2, v1
	v_mad_u64_u32 v[2:3], s[8:9], s7, v5, v[2:3]
	s_mov_b32 s23, 0x20000
	s_and_b32 s21, s25, 0xffff
	v_add_u32_e32 v3, s7, v2
	s_mov_b32 s8, s24
	s_mov_b32 s9, s21
	;; [unrolled: 1-line block ×4, first 2 shown]
	v_add_u32_e32 v6, s7, v3
	v_add_u32_e32 v7, s7, v6
	buffer_load_dword v8, v2, s[8:11], 0 offen
	buffer_load_dword v9, v3, s[8:11], 0 offen
	buffer_load_dword v10, v6, s[8:11], 0 offen
	buffer_load_dword v11, v7, s[8:11], 0 offen
	s_mul_i32 s1, s1, s6
	s_sub_i32 s4, s17, s4
	s_sub_i32 s1, s2, s1
	s_lshl_b32 s2, s7, 2
	s_mul_i32 s4, s4, s16
	v_add_u32_e32 v7, s2, v7
	s_add_i32 s1, s1, s4
	v_add_u32_e32 v6, s2, v6
	v_add_u32_e32 v3, s2, v3
	;; [unrolled: 1-line block ×3, first 2 shown]
	buffer_load_dword v12, v7, s[8:11], 0 offen
	buffer_load_dword v13, v6, s[8:11], 0 offen
	buffer_load_dword v14, v3, s[8:11], 0 offen
	buffer_load_dword v15, v2, s[8:11], 0 offen
	s_lshl_b32 s1, s1, 7
	v_mul_lo_u32 v2, s5, v5
	v_add3_u32 v2, v2, v85, s1
	s_and_b32 s17, s27, 0xffff
	v_add_u32_e32 v3, s5, v2
	s_mov_b32 s8, s26
	s_mov_b32 s9, s17
	;; [unrolled: 1-line block ×3, first 2 shown]
	v_add_u32_e32 v6, s5, v3
	v_add_u32_e32 v7, s5, v6
	buffer_load_dword v18, v2, s[8:11], 0 offen
	buffer_load_dword v19, v3, s[8:11], 0 offen
	;; [unrolled: 1-line block ×4, first 2 shown]
	s_lshl_b32 s4, s5, 2
	v_add_u32_e32 v7, s4, v7
	v_add_u32_e32 v6, s4, v6
	;; [unrolled: 1-line block ×4, first 2 shown]
	buffer_load_dword v22, v7, s[8:11], 0 offen
	buffer_load_dword v24, v3, s[8:11], 0 offen
	buffer_load_dword v26, v2, s[8:11], 0 offen
	buffer_load_dword v27, v6, s[8:11], 0 offen
	v_lshlrev_b32_e32 v2, 2, v85
	v_lshl_or_b32 v84, v1, 9, v2
	v_lshrrev_b32_e32 v1, 5, v0
	v_lshlrev_b32_e32 v0, 1, v0
	v_lshlrev_b32_e32 v2, 6, v1
	v_and_b32_e32 v3, 0x1f8, v0
	v_lshlrev_b32_e32 v1, 3, v1
	s_mov_b32 s6, 0xc0c0004
	v_sub_u32_e32 v2, v3, v2
	v_and_or_b32 v17, v0, 4, v1
	s_mov_b32 s8, 0xc0c0105
	v_and_or_b32 v16, v4, 4, v2
	s_mov_b32 s9, 0xc0c0206
	s_mov_b32 s10, 0xc0c0307
	v_lshlrev_b32_e32 v23, 2, v17
	v_lshlrev_b32_e32 v25, 2, v16
	s_mov_b32 s20, s24
	s_mov_b32 s19, s23
	s_mov_b32 s16, s26
	s_sub_i32 s11, s28, 32
	s_lshl_b32 s15, s5, 7
	s_lshl_b32 s24, s7, 7
	v_mov_b32_e32 v42, 0
	v_mov_b32_e32 v46, 0
	;; [unrolled: 1-line block ×27, first 2 shown]
	s_waitcnt vmcnt(14)
	v_perm_b32 v0, v8, v9, s6
	v_mov_b32_e32 v58, 0
	s_waitcnt vmcnt(12)
	v_perm_b32 v1, v10, v11, s6
	v_lshl_or_b32 v0, v1, 16, v0
	v_perm_b32 v1, v8, v9, s8
	v_perm_b32 v2, v10, v11, s8
	v_lshl_or_b32 v1, v2, 16, v1
	v_perm_b32 v2, v8, v9, s9
	;; [unrolled: 3-line block ×3, first 2 shown]
	v_perm_b32 v4, v10, v11, s10
	v_lshl_or_b32 v3, v4, 16, v3
	ds_write_b128 v84, v[0:3]
	s_waitcnt vmcnt(8)
	v_perm_b32 v0, v15, v14, s6
	v_perm_b32 v1, v13, v12, s6
	v_lshl_or_b32 v0, v1, 16, v0
	v_perm_b32 v1, v15, v14, s8
	v_perm_b32 v2, v13, v12, s8
	v_lshl_or_b32 v1, v2, 16, v1
	;; [unrolled: 3-line block ×4, first 2 shown]
	ds_write_b128 v84, v[0:3] offset:512
	s_waitcnt vmcnt(6)
	v_perm_b32 v0, v18, v19, s6
	s_waitcnt vmcnt(4)
	v_perm_b32 v1, v20, v21, s6
	v_lshl_or_b32 v0, v1, 16, v0
	v_perm_b32 v1, v18, v19, s8
	v_perm_b32 v2, v20, v21, s8
	v_lshl_or_b32 v1, v2, 16, v1
	v_perm_b32 v2, v18, v19, s9
	;; [unrolled: 3-line block ×3, first 2 shown]
	v_perm_b32 v4, v20, v21, s10
	v_lshl_or_b32 v3, v4, 16, v3
	ds_write_b128 v84, v[0:3] offset:16384
	s_waitcnt vmcnt(1)
	v_perm_b32 v0, v26, v24, s6
	s_waitcnt vmcnt(0)
	v_perm_b32 v1, v27, v22, s6
	v_lshl_or_b32 v0, v1, 16, v0
	v_perm_b32 v1, v26, v24, s8
	v_perm_b32 v2, v27, v22, s8
	v_lshl_or_b32 v1, v2, 16, v1
	v_perm_b32 v2, v26, v24, s9
	;; [unrolled: 3-line block ×3, first 2 shown]
	v_perm_b32 v4, v27, v22, s10
	v_lshl_or_b32 v3, v4, 16, v3
	ds_write_b128 v84, v[0:3] offset:16896
	v_or_b32_e32 v0, 7, v5
	v_mul_lo_u32 v1, s5, v0
	v_add_u32_e32 v86, s1, v1
	v_or_b32_e32 v1, 6, v5
	v_mul_lo_u32 v2, s5, v1
	v_add_u32_e32 v87, s1, v2
	;; [unrolled: 3-line block ×9, first 2 shown]
	v_or_b32_e32 v10, 0x82, v5
	v_mul_lo_u32 v11, s5, v10
	v_mul_lo_u32 v0, s7, v0
	v_add_u32_e32 v95, s1, v11
	v_or_b32_e32 v11, 0x81, v5
	v_add_u32_e32 v101, s0, v0
	v_mul_lo_u32 v0, s7, v1
	v_mul_lo_u32 v12, s5, v11
	v_add_u32_e32 v103, s0, v0
	v_mul_lo_u32 v0, s7, v2
	v_add_u32_e32 v96, s1, v12
	v_or_b32_e32 v12, 0x80, v5
	v_add_u32_e32 v106, s0, v0
	v_mul_lo_u32 v0, s7, v3
	v_mul_lo_u32 v13, s5, v12
	v_add_u32_e32 v109, s0, v0
	;; [unrolled: 7-line block ×8, first 2 shown]
	v_mul_lo_u32 v0, s7, v19
	v_add_u32_e32 v105, s1, v21
	v_or_b32_e32 v21, 0x41, v5
	v_add_u32_e32 v122, s0, v0
	v_mul_lo_u32 v0, s7, v20
	v_mul_lo_u32 v22, s5, v21
	v_or_b32_e32 v5, 64, v5
	v_add_u32_e32 v123, s0, v0
	v_mul_lo_u32 v0, s7, v21
	v_add_u32_e32 v107, s1, v22
	v_mul_lo_u32 v22, s5, v5
	;; [unrolled: 2-line block ×3, first 2 shown]
	v_add_u32_e32 v108, s1, v22
	v_add_u32_e32 v125, s0, v0
	v_mov_b32_e32 v18, 0
	v_mov_b32_e32 v24, 0
	;; [unrolled: 1-line block ×37, first 2 shown]
.LBB1_1:                                ; =>This Inner Loop Header: Depth=1
	v_add_u32_e32 v2, v85, v125
	v_add_u32_e32 v4, v85, v108
	;; [unrolled: 1-line block ×15, first 2 shown]
	buffer_load_dword v0, v2, s[20:23], 0 offen
	buffer_load_dword v1, v3, s[20:23], 0 offen
                                        ; kill: killed $vgpr3
                                        ; kill: killed $vgpr2
	s_nop 0
	buffer_load_dword v2, v5, s[20:23], 0 offen
	buffer_load_dword v15, v6, s[20:23], 0 offen
                                        ; kill: killed $vgpr6
                                        ; kill: killed $vgpr5
	buffer_load_dword v12, v7, s[20:23], 0 offen
	buffer_load_dword v13, v8, s[20:23], 0 offen
                                        ; kill: killed $vgpr7
                                        ; kill: killed $vgpr8
	buffer_load_dword v3, v9, s[20:23], 0 offen
	buffer_load_dword v14, v10, s[20:23], 0 offen
                                        ; kill: killed $vgpr10
                                        ; kill: killed $vgpr9
	s_nop 0
	buffer_load_dword v9, v4, s[16:19], 0 offen
	buffer_load_dword v10, v11, s[16:19], 0 offen
                                        ; kill: killed $vgpr4
                                        ; kill: killed $vgpr11
	buffer_load_dword v7, v127, s[16:19], 0 offen
	buffer_load_dword v8, v128, s[16:19], 0 offen
                                        ; kill: killed $vgpr128
                                        ; kill: killed $vgpr127
	s_nop 0
	buffer_load_dword v4, v129, s[16:19], 0 offen
	buffer_load_dword v5, v130, s[16:19], 0 offen
                                        ; kill: killed $vgpr130
                                        ; kill: killed $vgpr129
	buffer_load_dword v6, v131, s[16:19], 0 offen
	v_add_u32_e32 v11, v85, v98
	buffer_load_dword v11, v11, s[16:19], 0 offen
	s_waitcnt lgkmcnt(0)
	s_barrier
	ds_read_b128 v[128:131], v23
	ds_read_b128 v[132:135], v25 offset:16384
	ds_read_b128 v[136:139], v25 offset:16640
	;; [unrolled: 1-line block ×3, first 2 shown]
	v_add_u32_e32 v126, 32, v126
	v_cmp_gt_i32_e32 vcc, s11, v126
	s_waitcnt lgkmcnt(2)
	v_dot4c_i32_i8_e32 v81, v128, v132
	v_dot4c_i32_i8_e32 v83, v128, v133
	v_dot4c_i32_i8_e32 v82, v128, v134
	v_dot4c_i32_i8_e32 v80, v128, v135
	v_dot4c_i32_i8_e32 v71, v129, v132
	v_dot4c_i32_i8_e32 v74, v129, v133
	v_dot4c_i32_i8_e32 v70, v129, v134
	v_dot4c_i32_i8_e32 v68, v129, v135
	v_dot4c_i32_i8_e32 v66, v130, v132
	v_dot4c_i32_i8_e32 v67, v130, v133
	v_dot4c_i32_i8_e32 v65, v130, v134
	v_dot4c_i32_i8_e32 v64, v130, v135
	v_dot4c_i32_i8_e32 v54, v131, v132
	v_dot4c_i32_i8_e32 v56, v131, v133
	v_dot4c_i32_i8_e32 v53, v131, v134
	v_dot4c_i32_i8_e32 v52, v131, v135
	s_waitcnt lgkmcnt(1)
	v_dot4c_i32_i8_e32 v78, v128, v136
	v_dot4c_i32_i8_e32 v79, v128, v137
	v_dot4c_i32_i8_e32 v77, v128, v138
	v_dot4c_i32_i8_e32 v76, v128, v139
	v_dot4c_i32_i8_e32 v73, v129, v136
	v_dot4c_i32_i8_e32 v75, v129, v137
	v_dot4c_i32_i8_e32 v72, v129, v138
	v_dot4c_i32_i8_e32 v69, v129, v139
	v_dot4c_i32_i8_e32 v62, v130, v136
	v_dot4c_i32_i8_e32 v63, v130, v137
	v_dot4c_i32_i8_e32 v61, v130, v138
	v_dot4c_i32_i8_e32 v60, v130, v139
	v_dot4c_i32_i8_e32 v58, v131, v136
	v_dot4c_i32_i8_e32 v59, v131, v137
	v_dot4c_i32_i8_e32 v57, v131, v138
	v_dot4c_i32_i8_e32 v55, v131, v139
	;; [unrolled: 17-line block ×3, first 2 shown]
	v_dot4c_i32_i8_e32 v27, v140, v136
	v_dot4c_i32_i8_e32 v31, v140, v137
	;; [unrolled: 1-line block ×16, first 2 shown]
	ds_read_b128 v[128:131], v23 offset:512
	ds_read_b128 v[132:135], v25 offset:16896
	;; [unrolled: 1-line block ×4, first 2 shown]
	s_waitcnt vmcnt(14)
	v_perm_b32 v127, v0, v1, s6
	v_add_u32_e32 v86, s15, v86
	s_waitcnt lgkmcnt(2)
	v_dot4c_i32_i8_e32 v81, v128, v132
	v_dot4c_i32_i8_e32 v83, v128, v133
	v_dot4c_i32_i8_e32 v82, v128, v134
	v_dot4c_i32_i8_e32 v80, v128, v135
	v_dot4c_i32_i8_e32 v71, v129, v132
	v_dot4c_i32_i8_e32 v74, v129, v133
	v_dot4c_i32_i8_e32 v70, v129, v134
	v_dot4c_i32_i8_e32 v68, v129, v135
	v_dot4c_i32_i8_e32 v66, v130, v132
	v_dot4c_i32_i8_e32 v67, v130, v133
	v_dot4c_i32_i8_e32 v65, v130, v134
	v_dot4c_i32_i8_e32 v64, v130, v135
	v_dot4c_i32_i8_e32 v54, v131, v132
	v_dot4c_i32_i8_e32 v56, v131, v133
	v_dot4c_i32_i8_e32 v53, v131, v134
	v_dot4c_i32_i8_e32 v52, v131, v135
	s_waitcnt lgkmcnt(1)
	v_dot4c_i32_i8_e32 v78, v128, v136
	v_dot4c_i32_i8_e32 v79, v128, v137
	v_dot4c_i32_i8_e32 v77, v128, v138
	v_dot4c_i32_i8_e32 v76, v128, v139
	v_dot4c_i32_i8_e32 v73, v129, v136
	v_dot4c_i32_i8_e32 v75, v129, v137
	v_dot4c_i32_i8_e32 v72, v129, v138
	v_dot4c_i32_i8_e32 v69, v129, v139
	v_dot4c_i32_i8_e32 v62, v130, v136
	v_dot4c_i32_i8_e32 v63, v130, v137
	v_dot4c_i32_i8_e32 v61, v130, v138
	v_dot4c_i32_i8_e32 v60, v130, v139
	v_dot4c_i32_i8_e32 v58, v131, v136
	v_dot4c_i32_i8_e32 v59, v131, v137
	v_dot4c_i32_i8_e32 v57, v131, v138
	v_dot4c_i32_i8_e32 v55, v131, v139
	;; [unrolled: 17-line block ×3, first 2 shown]
	v_dot4c_i32_i8_e32 v27, v140, v136
	v_dot4c_i32_i8_e32 v31, v140, v137
	;; [unrolled: 1-line block ×16, first 2 shown]
	ds_read_b128 v[128:131], v23 offset:1024
	ds_read_b128 v[132:135], v25 offset:17408
	;; [unrolled: 1-line block ×4, first 2 shown]
	v_add_u32_e32 v87, s15, v87
	v_add_u32_e32 v88, s15, v88
	s_waitcnt lgkmcnt(2)
	v_dot4c_i32_i8_e32 v81, v128, v132
	v_dot4c_i32_i8_e32 v83, v128, v133
	v_dot4c_i32_i8_e32 v82, v128, v134
	v_dot4c_i32_i8_e32 v80, v128, v135
	v_dot4c_i32_i8_e32 v71, v129, v132
	v_dot4c_i32_i8_e32 v74, v129, v133
	v_dot4c_i32_i8_e32 v70, v129, v134
	v_dot4c_i32_i8_e32 v68, v129, v135
	v_dot4c_i32_i8_e32 v66, v130, v132
	v_dot4c_i32_i8_e32 v67, v130, v133
	v_dot4c_i32_i8_e32 v65, v130, v134
	v_dot4c_i32_i8_e32 v64, v130, v135
	v_dot4c_i32_i8_e32 v54, v131, v132
	v_dot4c_i32_i8_e32 v56, v131, v133
	v_dot4c_i32_i8_e32 v53, v131, v134
	v_dot4c_i32_i8_e32 v52, v131, v135
	s_waitcnt lgkmcnt(1)
	v_dot4c_i32_i8_e32 v78, v128, v136
	v_dot4c_i32_i8_e32 v79, v128, v137
	v_dot4c_i32_i8_e32 v77, v128, v138
	v_dot4c_i32_i8_e32 v76, v128, v139
	v_dot4c_i32_i8_e32 v73, v129, v136
	v_dot4c_i32_i8_e32 v75, v129, v137
	v_dot4c_i32_i8_e32 v72, v129, v138
	v_dot4c_i32_i8_e32 v69, v129, v139
	v_dot4c_i32_i8_e32 v62, v130, v136
	v_dot4c_i32_i8_e32 v63, v130, v137
	v_dot4c_i32_i8_e32 v61, v130, v138
	v_dot4c_i32_i8_e32 v60, v130, v139
	v_dot4c_i32_i8_e32 v58, v131, v136
	v_dot4c_i32_i8_e32 v59, v131, v137
	v_dot4c_i32_i8_e32 v57, v131, v138
	v_dot4c_i32_i8_e32 v55, v131, v139
	;; [unrolled: 17-line block ×3, first 2 shown]
	v_dot4c_i32_i8_e32 v27, v140, v136
	v_dot4c_i32_i8_e32 v31, v140, v137
	v_dot4c_i32_i8_e32 v26, v140, v138
	v_dot4c_i32_i8_e32 v20, v140, v139
	v_dot4c_i32_i8_e32 v30, v141, v136
	v_dot4c_i32_i8_e32 v32, v141, v137
	v_dot4c_i32_i8_e32 v29, v141, v138
	v_dot4c_i32_i8_e32 v24, v141, v139
	v_dot4c_i32_i8_e32 v45, v142, v136
	v_dot4c_i32_i8_e32 v47, v142, v137
	v_dot4c_i32_i8_e32 v44, v142, v138
	v_dot4c_i32_i8_e32 v39, v142, v139
	v_dot4c_i32_i8_e32 v43, v143, v136
	v_dot4c_i32_i8_e32 v46, v143, v137
	v_dot4c_i32_i8_e32 v42, v143, v138
	v_dot4c_i32_i8_e32 v18, v143, v139
	ds_read_b128 v[128:131], v23 offset:1536
	ds_read_b128 v[132:135], v25 offset:17920
	;; [unrolled: 1-line block ×4, first 2 shown]
	v_add_u32_e32 v89, s15, v89
	v_add_u32_e32 v98, s15, v98
	s_waitcnt lgkmcnt(2)
	v_dot4c_i32_i8_e32 v81, v128, v132
	v_dot4c_i32_i8_e32 v83, v128, v133
	v_dot4c_i32_i8_e32 v82, v128, v134
	v_dot4c_i32_i8_e32 v80, v128, v135
	v_dot4c_i32_i8_e32 v71, v129, v132
	v_dot4c_i32_i8_e32 v74, v129, v133
	v_dot4c_i32_i8_e32 v70, v129, v134
	v_dot4c_i32_i8_e32 v68, v129, v135
	v_dot4c_i32_i8_e32 v66, v130, v132
	v_dot4c_i32_i8_e32 v67, v130, v133
	v_dot4c_i32_i8_e32 v65, v130, v134
	v_dot4c_i32_i8_e32 v64, v130, v135
	v_dot4c_i32_i8_e32 v54, v131, v132
	v_dot4c_i32_i8_e32 v56, v131, v133
	v_dot4c_i32_i8_e32 v53, v131, v134
	v_dot4c_i32_i8_e32 v52, v131, v135
	s_waitcnt lgkmcnt(1)
	v_dot4c_i32_i8_e32 v78, v128, v136
	v_dot4c_i32_i8_e32 v79, v128, v137
	v_dot4c_i32_i8_e32 v77, v128, v138
	v_dot4c_i32_i8_e32 v76, v128, v139
	v_dot4c_i32_i8_e32 v73, v129, v136
	v_dot4c_i32_i8_e32 v75, v129, v137
	v_dot4c_i32_i8_e32 v72, v129, v138
	v_dot4c_i32_i8_e32 v69, v129, v139
	v_dot4c_i32_i8_e32 v62, v130, v136
	v_dot4c_i32_i8_e32 v63, v130, v137
	v_dot4c_i32_i8_e32 v61, v130, v138
	v_dot4c_i32_i8_e32 v60, v130, v139
	v_dot4c_i32_i8_e32 v58, v131, v136
	v_dot4c_i32_i8_e32 v59, v131, v137
	v_dot4c_i32_i8_e32 v57, v131, v138
	v_dot4c_i32_i8_e32 v55, v131, v139
	;; [unrolled: 17-line block ×3, first 2 shown]
	v_dot4c_i32_i8_e32 v27, v140, v136
	v_dot4c_i32_i8_e32 v31, v140, v137
	;; [unrolled: 1-line block ×16, first 2 shown]
	ds_read_b128 v[128:131], v23 offset:2048
	ds_read_b128 v[132:135], v25 offset:18432
	;; [unrolled: 1-line block ×4, first 2 shown]
	v_add_u32_e32 v99, s15, v99
	v_add_u32_e32 v100, s15, v100
	s_waitcnt lgkmcnt(2)
	v_dot4c_i32_i8_e32 v81, v128, v132
	v_dot4c_i32_i8_e32 v83, v128, v133
	v_dot4c_i32_i8_e32 v82, v128, v134
	v_dot4c_i32_i8_e32 v80, v128, v135
	v_dot4c_i32_i8_e32 v71, v129, v132
	v_dot4c_i32_i8_e32 v74, v129, v133
	v_dot4c_i32_i8_e32 v70, v129, v134
	v_dot4c_i32_i8_e32 v68, v129, v135
	v_dot4c_i32_i8_e32 v66, v130, v132
	v_dot4c_i32_i8_e32 v67, v130, v133
	v_dot4c_i32_i8_e32 v65, v130, v134
	v_dot4c_i32_i8_e32 v64, v130, v135
	v_dot4c_i32_i8_e32 v54, v131, v132
	v_dot4c_i32_i8_e32 v56, v131, v133
	v_dot4c_i32_i8_e32 v53, v131, v134
	v_dot4c_i32_i8_e32 v52, v131, v135
	s_waitcnt lgkmcnt(1)
	v_dot4c_i32_i8_e32 v78, v128, v136
	v_dot4c_i32_i8_e32 v79, v128, v137
	v_dot4c_i32_i8_e32 v77, v128, v138
	v_dot4c_i32_i8_e32 v76, v128, v139
	v_dot4c_i32_i8_e32 v73, v129, v136
	v_dot4c_i32_i8_e32 v75, v129, v137
	v_dot4c_i32_i8_e32 v72, v129, v138
	v_dot4c_i32_i8_e32 v69, v129, v139
	v_dot4c_i32_i8_e32 v62, v130, v136
	v_dot4c_i32_i8_e32 v63, v130, v137
	v_dot4c_i32_i8_e32 v61, v130, v138
	v_dot4c_i32_i8_e32 v60, v130, v139
	v_dot4c_i32_i8_e32 v58, v131, v136
	v_dot4c_i32_i8_e32 v59, v131, v137
	v_dot4c_i32_i8_e32 v57, v131, v138
	v_dot4c_i32_i8_e32 v55, v131, v139
	;; [unrolled: 17-line block ×3, first 2 shown]
	v_dot4c_i32_i8_e32 v27, v140, v136
	v_dot4c_i32_i8_e32 v31, v140, v137
	;; [unrolled: 1-line block ×16, first 2 shown]
	ds_read_b128 v[128:131], v23 offset:2560
	ds_read_b128 v[132:135], v25 offset:18944
	;; [unrolled: 1-line block ×4, first 2 shown]
	v_add_u32_e32 v102, s15, v102
	v_add_u32_e32 v104, s15, v104
	s_waitcnt lgkmcnt(2)
	v_dot4c_i32_i8_e32 v81, v128, v132
	v_dot4c_i32_i8_e32 v83, v128, v133
	v_dot4c_i32_i8_e32 v82, v128, v134
	v_dot4c_i32_i8_e32 v80, v128, v135
	v_dot4c_i32_i8_e32 v71, v129, v132
	v_dot4c_i32_i8_e32 v74, v129, v133
	v_dot4c_i32_i8_e32 v70, v129, v134
	v_dot4c_i32_i8_e32 v68, v129, v135
	v_dot4c_i32_i8_e32 v66, v130, v132
	v_dot4c_i32_i8_e32 v67, v130, v133
	v_dot4c_i32_i8_e32 v65, v130, v134
	v_dot4c_i32_i8_e32 v64, v130, v135
	v_dot4c_i32_i8_e32 v54, v131, v132
	v_dot4c_i32_i8_e32 v56, v131, v133
	v_dot4c_i32_i8_e32 v53, v131, v134
	v_dot4c_i32_i8_e32 v52, v131, v135
	s_waitcnt lgkmcnt(1)
	v_dot4c_i32_i8_e32 v78, v128, v136
	v_dot4c_i32_i8_e32 v79, v128, v137
	v_dot4c_i32_i8_e32 v77, v128, v138
	v_dot4c_i32_i8_e32 v76, v128, v139
	v_dot4c_i32_i8_e32 v73, v129, v136
	v_dot4c_i32_i8_e32 v75, v129, v137
	v_dot4c_i32_i8_e32 v72, v129, v138
	v_dot4c_i32_i8_e32 v69, v129, v139
	v_dot4c_i32_i8_e32 v62, v130, v136
	v_dot4c_i32_i8_e32 v63, v130, v137
	v_dot4c_i32_i8_e32 v61, v130, v138
	v_dot4c_i32_i8_e32 v60, v130, v139
	v_dot4c_i32_i8_e32 v58, v131, v136
	v_dot4c_i32_i8_e32 v59, v131, v137
	v_dot4c_i32_i8_e32 v57, v131, v138
	v_dot4c_i32_i8_e32 v55, v131, v139
	;; [unrolled: 17-line block ×3, first 2 shown]
	v_dot4c_i32_i8_e32 v27, v140, v136
	v_dot4c_i32_i8_e32 v31, v140, v137
	;; [unrolled: 1-line block ×16, first 2 shown]
	ds_read_b128 v[128:131], v23 offset:3072
	ds_read_b128 v[132:135], v25 offset:19456
	;; [unrolled: 1-line block ×4, first 2 shown]
	v_add_u32_e32 v105, s15, v105
	v_add_u32_e32 v107, s15, v107
	s_waitcnt lgkmcnt(2)
	v_dot4c_i32_i8_e32 v81, v128, v132
	v_dot4c_i32_i8_e32 v83, v128, v133
	v_dot4c_i32_i8_e32 v82, v128, v134
	v_dot4c_i32_i8_e32 v80, v128, v135
	v_dot4c_i32_i8_e32 v71, v129, v132
	v_dot4c_i32_i8_e32 v74, v129, v133
	v_dot4c_i32_i8_e32 v70, v129, v134
	v_dot4c_i32_i8_e32 v68, v129, v135
	v_dot4c_i32_i8_e32 v66, v130, v132
	v_dot4c_i32_i8_e32 v67, v130, v133
	v_dot4c_i32_i8_e32 v65, v130, v134
	v_dot4c_i32_i8_e32 v64, v130, v135
	v_dot4c_i32_i8_e32 v54, v131, v132
	v_dot4c_i32_i8_e32 v56, v131, v133
	v_dot4c_i32_i8_e32 v53, v131, v134
	v_dot4c_i32_i8_e32 v52, v131, v135
	s_waitcnt lgkmcnt(1)
	v_dot4c_i32_i8_e32 v78, v128, v136
	v_dot4c_i32_i8_e32 v79, v128, v137
	v_dot4c_i32_i8_e32 v77, v128, v138
	v_dot4c_i32_i8_e32 v76, v128, v139
	v_dot4c_i32_i8_e32 v73, v129, v136
	v_dot4c_i32_i8_e32 v75, v129, v137
	v_dot4c_i32_i8_e32 v72, v129, v138
	v_dot4c_i32_i8_e32 v69, v129, v139
	v_dot4c_i32_i8_e32 v62, v130, v136
	v_dot4c_i32_i8_e32 v63, v130, v137
	v_dot4c_i32_i8_e32 v61, v130, v138
	v_dot4c_i32_i8_e32 v60, v130, v139
	v_dot4c_i32_i8_e32 v58, v131, v136
	v_dot4c_i32_i8_e32 v59, v131, v137
	v_dot4c_i32_i8_e32 v57, v131, v138
	v_dot4c_i32_i8_e32 v55, v131, v139
	;; [unrolled: 17-line block ×3, first 2 shown]
	v_dot4c_i32_i8_e32 v27, v140, v136
	v_dot4c_i32_i8_e32 v31, v140, v137
	;; [unrolled: 1-line block ×16, first 2 shown]
	ds_read_b128 v[128:131], v23 offset:3584
	ds_read_b128 v[132:135], v25 offset:19968
	ds_read_b128 v[136:139], v25 offset:20224
	ds_read_b128 v[140:143], v23 offset:3840
	v_add_u32_e32 v108, s15, v108
	v_add_u32_e32 v101, s24, v101
	s_waitcnt lgkmcnt(2)
	v_dot4c_i32_i8_e32 v81, v128, v132
	v_dot4c_i32_i8_e32 v83, v128, v133
	v_dot4c_i32_i8_e32 v82, v128, v134
	v_dot4c_i32_i8_e32 v80, v128, v135
	v_dot4c_i32_i8_e32 v71, v129, v132
	v_dot4c_i32_i8_e32 v74, v129, v133
	v_dot4c_i32_i8_e32 v70, v129, v134
	v_dot4c_i32_i8_e32 v68, v129, v135
	v_dot4c_i32_i8_e32 v66, v130, v132
	v_dot4c_i32_i8_e32 v67, v130, v133
	v_dot4c_i32_i8_e32 v65, v130, v134
	v_dot4c_i32_i8_e32 v64, v130, v135
	v_dot4c_i32_i8_e32 v54, v131, v132
	v_dot4c_i32_i8_e32 v56, v131, v133
	v_dot4c_i32_i8_e32 v53, v131, v134
	v_dot4c_i32_i8_e32 v52, v131, v135
	s_waitcnt lgkmcnt(1)
	v_dot4c_i32_i8_e32 v78, v128, v136
	v_dot4c_i32_i8_e32 v79, v128, v137
	v_dot4c_i32_i8_e32 v77, v128, v138
	v_dot4c_i32_i8_e32 v76, v128, v139
	v_dot4c_i32_i8_e32 v73, v129, v136
	v_dot4c_i32_i8_e32 v75, v129, v137
	v_dot4c_i32_i8_e32 v72, v129, v138
	v_dot4c_i32_i8_e32 v69, v129, v139
	v_dot4c_i32_i8_e32 v62, v130, v136
	v_dot4c_i32_i8_e32 v63, v130, v137
	v_dot4c_i32_i8_e32 v61, v130, v138
	v_dot4c_i32_i8_e32 v60, v130, v139
	v_dot4c_i32_i8_e32 v58, v131, v136
	v_dot4c_i32_i8_e32 v59, v131, v137
	v_dot4c_i32_i8_e32 v57, v131, v138
	v_dot4c_i32_i8_e32 v55, v131, v139
	;; [unrolled: 17-line block ×3, first 2 shown]
	v_dot4c_i32_i8_e32 v27, v140, v136
	v_dot4c_i32_i8_e32 v31, v140, v137
	;; [unrolled: 1-line block ×16, first 2 shown]
	ds_read_b128 v[128:131], v23 offset:4096
	ds_read_b128 v[132:135], v25 offset:20480
	;; [unrolled: 1-line block ×4, first 2 shown]
	v_add_u32_e32 v103, s24, v103
	v_add_u32_e32 v106, s24, v106
	s_waitcnt lgkmcnt(2)
	v_dot4c_i32_i8_e32 v81, v128, v132
	v_dot4c_i32_i8_e32 v83, v128, v133
	v_dot4c_i32_i8_e32 v82, v128, v134
	v_dot4c_i32_i8_e32 v80, v128, v135
	v_dot4c_i32_i8_e32 v71, v129, v132
	v_dot4c_i32_i8_e32 v74, v129, v133
	v_dot4c_i32_i8_e32 v70, v129, v134
	v_dot4c_i32_i8_e32 v68, v129, v135
	v_dot4c_i32_i8_e32 v66, v130, v132
	v_dot4c_i32_i8_e32 v67, v130, v133
	v_dot4c_i32_i8_e32 v65, v130, v134
	v_dot4c_i32_i8_e32 v64, v130, v135
	v_dot4c_i32_i8_e32 v54, v131, v132
	v_dot4c_i32_i8_e32 v56, v131, v133
	v_dot4c_i32_i8_e32 v53, v131, v134
	v_dot4c_i32_i8_e32 v52, v131, v135
	s_waitcnt lgkmcnt(1)
	v_dot4c_i32_i8_e32 v78, v128, v136
	v_dot4c_i32_i8_e32 v79, v128, v137
	v_dot4c_i32_i8_e32 v77, v128, v138
	v_dot4c_i32_i8_e32 v76, v128, v139
	v_dot4c_i32_i8_e32 v73, v129, v136
	v_dot4c_i32_i8_e32 v75, v129, v137
	v_dot4c_i32_i8_e32 v72, v129, v138
	v_dot4c_i32_i8_e32 v69, v129, v139
	v_dot4c_i32_i8_e32 v62, v130, v136
	v_dot4c_i32_i8_e32 v63, v130, v137
	v_dot4c_i32_i8_e32 v61, v130, v138
	v_dot4c_i32_i8_e32 v60, v130, v139
	v_dot4c_i32_i8_e32 v58, v131, v136
	v_dot4c_i32_i8_e32 v59, v131, v137
	v_dot4c_i32_i8_e32 v57, v131, v138
	v_dot4c_i32_i8_e32 v55, v131, v139
	;; [unrolled: 17-line block ×3, first 2 shown]
	v_dot4c_i32_i8_e32 v27, v140, v136
	v_dot4c_i32_i8_e32 v31, v140, v137
	;; [unrolled: 1-line block ×16, first 2 shown]
	ds_read_b128 v[128:131], v23 offset:4608
	ds_read_b128 v[132:135], v25 offset:20992
	;; [unrolled: 1-line block ×4, first 2 shown]
	v_add_u32_e32 v109, s24, v109
	v_add_u32_e32 v118, s24, v118
	s_waitcnt lgkmcnt(2)
	v_dot4c_i32_i8_e32 v81, v128, v132
	v_dot4c_i32_i8_e32 v83, v128, v133
	v_dot4c_i32_i8_e32 v82, v128, v134
	v_dot4c_i32_i8_e32 v80, v128, v135
	v_dot4c_i32_i8_e32 v71, v129, v132
	v_dot4c_i32_i8_e32 v74, v129, v133
	v_dot4c_i32_i8_e32 v70, v129, v134
	v_dot4c_i32_i8_e32 v68, v129, v135
	v_dot4c_i32_i8_e32 v66, v130, v132
	v_dot4c_i32_i8_e32 v67, v130, v133
	v_dot4c_i32_i8_e32 v65, v130, v134
	v_dot4c_i32_i8_e32 v64, v130, v135
	v_dot4c_i32_i8_e32 v54, v131, v132
	v_dot4c_i32_i8_e32 v56, v131, v133
	v_dot4c_i32_i8_e32 v53, v131, v134
	v_dot4c_i32_i8_e32 v52, v131, v135
	s_waitcnt lgkmcnt(1)
	v_dot4c_i32_i8_e32 v78, v128, v136
	v_dot4c_i32_i8_e32 v79, v128, v137
	v_dot4c_i32_i8_e32 v77, v128, v138
	v_dot4c_i32_i8_e32 v76, v128, v139
	v_dot4c_i32_i8_e32 v73, v129, v136
	v_dot4c_i32_i8_e32 v75, v129, v137
	v_dot4c_i32_i8_e32 v72, v129, v138
	v_dot4c_i32_i8_e32 v69, v129, v139
	v_dot4c_i32_i8_e32 v62, v130, v136
	v_dot4c_i32_i8_e32 v63, v130, v137
	v_dot4c_i32_i8_e32 v61, v130, v138
	v_dot4c_i32_i8_e32 v60, v130, v139
	v_dot4c_i32_i8_e32 v58, v131, v136
	v_dot4c_i32_i8_e32 v59, v131, v137
	v_dot4c_i32_i8_e32 v57, v131, v138
	v_dot4c_i32_i8_e32 v55, v131, v139
	;; [unrolled: 17-line block ×3, first 2 shown]
	v_dot4c_i32_i8_e32 v27, v140, v136
	v_dot4c_i32_i8_e32 v31, v140, v137
	;; [unrolled: 1-line block ×16, first 2 shown]
	ds_read_b128 v[128:131], v23 offset:5120
	ds_read_b128 v[132:135], v25 offset:21504
	;; [unrolled: 1-line block ×4, first 2 shown]
	v_add_u32_e32 v119, s24, v119
	v_add_u32_e32 v120, s24, v120
	s_waitcnt lgkmcnt(2)
	v_dot4c_i32_i8_e32 v81, v128, v132
	v_dot4c_i32_i8_e32 v83, v128, v133
	v_dot4c_i32_i8_e32 v82, v128, v134
	v_dot4c_i32_i8_e32 v80, v128, v135
	v_dot4c_i32_i8_e32 v71, v129, v132
	v_dot4c_i32_i8_e32 v74, v129, v133
	v_dot4c_i32_i8_e32 v70, v129, v134
	v_dot4c_i32_i8_e32 v68, v129, v135
	v_dot4c_i32_i8_e32 v66, v130, v132
	v_dot4c_i32_i8_e32 v67, v130, v133
	v_dot4c_i32_i8_e32 v65, v130, v134
	v_dot4c_i32_i8_e32 v64, v130, v135
	v_dot4c_i32_i8_e32 v54, v131, v132
	v_dot4c_i32_i8_e32 v56, v131, v133
	v_dot4c_i32_i8_e32 v53, v131, v134
	v_dot4c_i32_i8_e32 v52, v131, v135
	s_waitcnt lgkmcnt(1)
	v_dot4c_i32_i8_e32 v78, v128, v136
	v_dot4c_i32_i8_e32 v79, v128, v137
	v_dot4c_i32_i8_e32 v77, v128, v138
	v_dot4c_i32_i8_e32 v76, v128, v139
	v_dot4c_i32_i8_e32 v73, v129, v136
	v_dot4c_i32_i8_e32 v75, v129, v137
	v_dot4c_i32_i8_e32 v72, v129, v138
	v_dot4c_i32_i8_e32 v69, v129, v139
	v_dot4c_i32_i8_e32 v62, v130, v136
	v_dot4c_i32_i8_e32 v63, v130, v137
	v_dot4c_i32_i8_e32 v61, v130, v138
	v_dot4c_i32_i8_e32 v60, v130, v139
	v_dot4c_i32_i8_e32 v58, v131, v136
	v_dot4c_i32_i8_e32 v59, v131, v137
	v_dot4c_i32_i8_e32 v57, v131, v138
	v_dot4c_i32_i8_e32 v55, v131, v139
	;; [unrolled: 17-line block ×3, first 2 shown]
	v_dot4c_i32_i8_e32 v27, v140, v136
	v_dot4c_i32_i8_e32 v31, v140, v137
	;; [unrolled: 1-line block ×16, first 2 shown]
	ds_read_b128 v[128:131], v23 offset:5632
	ds_read_b128 v[132:135], v25 offset:22016
	;; [unrolled: 1-line block ×4, first 2 shown]
	v_add_u32_e32 v121, s24, v121
	v_add_u32_e32 v122, s24, v122
	s_waitcnt lgkmcnt(2)
	v_dot4c_i32_i8_e32 v81, v128, v132
	v_dot4c_i32_i8_e32 v83, v128, v133
	v_dot4c_i32_i8_e32 v82, v128, v134
	v_dot4c_i32_i8_e32 v80, v128, v135
	v_dot4c_i32_i8_e32 v71, v129, v132
	v_dot4c_i32_i8_e32 v74, v129, v133
	v_dot4c_i32_i8_e32 v70, v129, v134
	v_dot4c_i32_i8_e32 v68, v129, v135
	v_dot4c_i32_i8_e32 v66, v130, v132
	v_dot4c_i32_i8_e32 v67, v130, v133
	v_dot4c_i32_i8_e32 v65, v130, v134
	v_dot4c_i32_i8_e32 v64, v130, v135
	v_dot4c_i32_i8_e32 v54, v131, v132
	v_dot4c_i32_i8_e32 v56, v131, v133
	v_dot4c_i32_i8_e32 v53, v131, v134
	v_dot4c_i32_i8_e32 v52, v131, v135
	s_waitcnt lgkmcnt(1)
	v_dot4c_i32_i8_e32 v78, v128, v136
	v_dot4c_i32_i8_e32 v79, v128, v137
	v_dot4c_i32_i8_e32 v77, v128, v138
	v_dot4c_i32_i8_e32 v76, v128, v139
	v_dot4c_i32_i8_e32 v73, v129, v136
	v_dot4c_i32_i8_e32 v75, v129, v137
	v_dot4c_i32_i8_e32 v72, v129, v138
	v_dot4c_i32_i8_e32 v69, v129, v139
	v_dot4c_i32_i8_e32 v62, v130, v136
	v_dot4c_i32_i8_e32 v63, v130, v137
	v_dot4c_i32_i8_e32 v61, v130, v138
	v_dot4c_i32_i8_e32 v60, v130, v139
	v_dot4c_i32_i8_e32 v58, v131, v136
	v_dot4c_i32_i8_e32 v59, v131, v137
	v_dot4c_i32_i8_e32 v57, v131, v138
	v_dot4c_i32_i8_e32 v55, v131, v139
	;; [unrolled: 17-line block ×3, first 2 shown]
	v_dot4c_i32_i8_e32 v27, v140, v136
	v_dot4c_i32_i8_e32 v31, v140, v137
	;; [unrolled: 1-line block ×16, first 2 shown]
	ds_read_b128 v[128:131], v23 offset:6144
	ds_read_b128 v[132:135], v25 offset:22528
	;; [unrolled: 1-line block ×4, first 2 shown]
	v_add_u32_e32 v123, s24, v123
	v_add_u32_e32 v124, s24, v124
	s_waitcnt lgkmcnt(2)
	v_dot4c_i32_i8_e32 v81, v128, v132
	v_dot4c_i32_i8_e32 v83, v128, v133
	v_dot4c_i32_i8_e32 v82, v128, v134
	v_dot4c_i32_i8_e32 v80, v128, v135
	v_dot4c_i32_i8_e32 v71, v129, v132
	v_dot4c_i32_i8_e32 v74, v129, v133
	v_dot4c_i32_i8_e32 v70, v129, v134
	v_dot4c_i32_i8_e32 v68, v129, v135
	v_dot4c_i32_i8_e32 v66, v130, v132
	v_dot4c_i32_i8_e32 v67, v130, v133
	v_dot4c_i32_i8_e32 v65, v130, v134
	v_dot4c_i32_i8_e32 v64, v130, v135
	v_dot4c_i32_i8_e32 v54, v131, v132
	v_dot4c_i32_i8_e32 v56, v131, v133
	v_dot4c_i32_i8_e32 v53, v131, v134
	v_dot4c_i32_i8_e32 v52, v131, v135
	s_waitcnt lgkmcnt(1)
	v_dot4c_i32_i8_e32 v78, v128, v136
	v_dot4c_i32_i8_e32 v79, v128, v137
	v_dot4c_i32_i8_e32 v77, v128, v138
	v_dot4c_i32_i8_e32 v76, v128, v139
	v_dot4c_i32_i8_e32 v73, v129, v136
	v_dot4c_i32_i8_e32 v75, v129, v137
	v_dot4c_i32_i8_e32 v72, v129, v138
	v_dot4c_i32_i8_e32 v69, v129, v139
	v_dot4c_i32_i8_e32 v62, v130, v136
	v_dot4c_i32_i8_e32 v63, v130, v137
	v_dot4c_i32_i8_e32 v61, v130, v138
	v_dot4c_i32_i8_e32 v60, v130, v139
	v_dot4c_i32_i8_e32 v58, v131, v136
	v_dot4c_i32_i8_e32 v59, v131, v137
	v_dot4c_i32_i8_e32 v57, v131, v138
	v_dot4c_i32_i8_e32 v55, v131, v139
	;; [unrolled: 17-line block ×3, first 2 shown]
	v_dot4c_i32_i8_e32 v27, v140, v136
	v_dot4c_i32_i8_e32 v31, v140, v137
	;; [unrolled: 1-line block ×16, first 2 shown]
	ds_read_b128 v[128:131], v23 offset:6656
	ds_read_b128 v[132:135], v25 offset:23040
	;; [unrolled: 1-line block ×4, first 2 shown]
	v_add_u32_e32 v125, s24, v125
	s_and_b64 vcc, exec, vcc
	s_waitcnt lgkmcnt(2)
	v_dot4c_i32_i8_e32 v81, v128, v132
	v_dot4c_i32_i8_e32 v83, v128, v133
	v_dot4c_i32_i8_e32 v82, v128, v134
	v_dot4c_i32_i8_e32 v80, v128, v135
	v_dot4c_i32_i8_e32 v71, v129, v132
	v_dot4c_i32_i8_e32 v74, v129, v133
	v_dot4c_i32_i8_e32 v70, v129, v134
	v_dot4c_i32_i8_e32 v68, v129, v135
	v_dot4c_i32_i8_e32 v66, v130, v132
	v_dot4c_i32_i8_e32 v67, v130, v133
	v_dot4c_i32_i8_e32 v65, v130, v134
	v_dot4c_i32_i8_e32 v64, v130, v135
	v_dot4c_i32_i8_e32 v54, v131, v132
	v_dot4c_i32_i8_e32 v56, v131, v133
	v_dot4c_i32_i8_e32 v53, v131, v134
	v_dot4c_i32_i8_e32 v52, v131, v135
	s_waitcnt lgkmcnt(1)
	v_dot4c_i32_i8_e32 v78, v128, v136
	v_dot4c_i32_i8_e32 v79, v128, v137
	v_dot4c_i32_i8_e32 v77, v128, v138
	v_dot4c_i32_i8_e32 v76, v128, v139
	v_dot4c_i32_i8_e32 v73, v129, v136
	v_dot4c_i32_i8_e32 v75, v129, v137
	v_dot4c_i32_i8_e32 v72, v129, v138
	v_dot4c_i32_i8_e32 v69, v129, v139
	v_dot4c_i32_i8_e32 v62, v130, v136
	v_dot4c_i32_i8_e32 v63, v130, v137
	v_dot4c_i32_i8_e32 v61, v130, v138
	v_dot4c_i32_i8_e32 v60, v130, v139
	v_dot4c_i32_i8_e32 v58, v131, v136
	v_dot4c_i32_i8_e32 v59, v131, v137
	v_dot4c_i32_i8_e32 v57, v131, v138
	v_dot4c_i32_i8_e32 v55, v131, v139
	s_waitcnt lgkmcnt(0)
	v_dot4c_i32_i8_e32 v22, v140, v132
	v_dot4c_i32_i8_e32 v28, v140, v133
	v_dot4c_i32_i8_e32 v21, v140, v134
	v_dot4c_i32_i8_e32 v19, v140, v135
	v_dot4c_i32_i8_e32 v38, v141, v132
	v_dot4c_i32_i8_e32 v41, v141, v133
	v_dot4c_i32_i8_e32 v37, v141, v134
	v_dot4c_i32_i8_e32 v34, v141, v135
	v_dot4c_i32_i8_e32 v36, v142, v132
	v_dot4c_i32_i8_e32 v40, v142, v133
	v_dot4c_i32_i8_e32 v35, v142, v134
	v_dot4c_i32_i8_e32 v33, v142, v135
	v_dot4c_i32_i8_e32 v50, v143, v132
	v_dot4c_i32_i8_e32 v51, v143, v133
	v_dot4c_i32_i8_e32 v49, v143, v134
	v_dot4c_i32_i8_e32 v48, v143, v135
	v_dot4c_i32_i8_e32 v27, v140, v136
	v_dot4c_i32_i8_e32 v31, v140, v137
	;; [unrolled: 1-line block ×16, first 2 shown]
	ds_read_b128 v[128:131], v23 offset:7168
	ds_read_b128 v[132:135], v25 offset:23552
	;; [unrolled: 1-line block ×4, first 2 shown]
	s_waitcnt lgkmcnt(2)
	v_dot4c_i32_i8_e32 v81, v128, v132
	v_dot4c_i32_i8_e32 v83, v128, v133
	v_dot4c_i32_i8_e32 v82, v128, v134
	v_dot4c_i32_i8_e32 v80, v128, v135
	v_dot4c_i32_i8_e32 v71, v129, v132
	v_dot4c_i32_i8_e32 v74, v129, v133
	v_dot4c_i32_i8_e32 v70, v129, v134
	v_dot4c_i32_i8_e32 v68, v129, v135
	v_dot4c_i32_i8_e32 v66, v130, v132
	v_dot4c_i32_i8_e32 v67, v130, v133
	v_dot4c_i32_i8_e32 v65, v130, v134
	v_dot4c_i32_i8_e32 v64, v130, v135
	v_dot4c_i32_i8_e32 v54, v131, v132
	v_dot4c_i32_i8_e32 v56, v131, v133
	v_dot4c_i32_i8_e32 v53, v131, v134
	v_dot4c_i32_i8_e32 v52, v131, v135
	s_waitcnt lgkmcnt(1)
	v_dot4c_i32_i8_e32 v78, v128, v136
	v_dot4c_i32_i8_e32 v79, v128, v137
	v_dot4c_i32_i8_e32 v77, v128, v138
	v_dot4c_i32_i8_e32 v76, v128, v139
	v_dot4c_i32_i8_e32 v73, v129, v136
	v_dot4c_i32_i8_e32 v75, v129, v137
	v_dot4c_i32_i8_e32 v72, v129, v138
	v_dot4c_i32_i8_e32 v69, v129, v139
	v_dot4c_i32_i8_e32 v62, v130, v136
	v_dot4c_i32_i8_e32 v63, v130, v137
	v_dot4c_i32_i8_e32 v61, v130, v138
	v_dot4c_i32_i8_e32 v60, v130, v139
	v_dot4c_i32_i8_e32 v58, v131, v136
	v_dot4c_i32_i8_e32 v59, v131, v137
	v_dot4c_i32_i8_e32 v57, v131, v138
	v_dot4c_i32_i8_e32 v55, v131, v139
	;; [unrolled: 17-line block ×3, first 2 shown]
	v_dot4c_i32_i8_e32 v27, v140, v136
	v_dot4c_i32_i8_e32 v31, v140, v137
	v_dot4c_i32_i8_e32 v26, v140, v138
	v_dot4c_i32_i8_e32 v20, v140, v139
	v_dot4c_i32_i8_e32 v30, v141, v136
	v_dot4c_i32_i8_e32 v32, v141, v137
	v_dot4c_i32_i8_e32 v29, v141, v138
	v_dot4c_i32_i8_e32 v24, v141, v139
	v_dot4c_i32_i8_e32 v45, v142, v136
	v_dot4c_i32_i8_e32 v47, v142, v137
	v_dot4c_i32_i8_e32 v44, v142, v138
	v_dot4c_i32_i8_e32 v39, v142, v139
	v_dot4c_i32_i8_e32 v43, v143, v136
	v_dot4c_i32_i8_e32 v46, v143, v137
	v_dot4c_i32_i8_e32 v42, v143, v138
	v_dot4c_i32_i8_e32 v18, v143, v139
	ds_read_b128 v[128:131], v23 offset:7680
	ds_read_b128 v[132:135], v25 offset:24064
	;; [unrolled: 1-line block ×4, first 2 shown]
	s_waitcnt lgkmcnt(2)
	v_dot4c_i32_i8_e32 v81, v128, v132
	v_dot4c_i32_i8_e32 v83, v128, v133
	;; [unrolled: 1-line block ×4, first 2 shown]
	s_waitcnt lgkmcnt(1)
	v_dot4c_i32_i8_e32 v78, v128, v136
	v_dot4c_i32_i8_e32 v79, v128, v137
	;; [unrolled: 1-line block ×4, first 2 shown]
	s_waitcnt vmcnt(12)
	v_perm_b32 v128, v2, v15, s6
	v_dot4c_i32_i8_e32 v71, v129, v132
	v_dot4c_i32_i8_e32 v74, v129, v133
	;; [unrolled: 1-line block ×16, first 2 shown]
	v_perm_b32 v129, v0, v1, s8
	v_perm_b32 v130, v2, v15, s8
	v_lshl_or_b32 v128, v128, 16, v127
	v_perm_b32 v127, v0, v1, s9
	v_perm_b32 v0, v0, v1, s10
	v_perm_b32 v1, v2, v15, s10
	v_dot4c_i32_i8_e32 v54, v131, v132
	v_dot4c_i32_i8_e32 v56, v131, v133
	;; [unrolled: 1-line block ×8, first 2 shown]
	v_lshl_or_b32 v129, v130, 16, v129
	v_perm_b32 v130, v2, v15, s9
	v_lshl_or_b32 v131, v1, 16, v0
	s_waitcnt vmcnt(8)
	v_perm_b32 v0, v14, v3, s6
	v_perm_b32 v1, v13, v12, s6
	v_perm_b32 v2, v14, v3, s8
	v_perm_b32 v15, v13, v12, s8
	v_lshl_or_b32 v0, v1, 16, v0
	v_lshl_or_b32 v1, v15, 16, v2
	v_perm_b32 v2, v14, v3, s9
	v_perm_b32 v15, v13, v12, s9
	;; [unrolled: 1-line block ×4, first 2 shown]
	v_lshl_or_b32 v2, v15, 16, v2
	v_lshl_or_b32 v3, v12, 16, v3
	ds_write_b128 v84, v[0:3] offset:8704
	s_waitcnt vmcnt(6)
	v_perm_b32 v1, v9, v10, s8
	s_waitcnt vmcnt(4)
	v_perm_b32 v2, v7, v8, s8
	v_lshl_or_b32 v1, v2, 16, v1
	v_perm_b32 v2, v9, v10, s9
	v_perm_b32 v3, v7, v8, s9
	;; [unrolled: 1-line block ×4, first 2 shown]
	v_lshl_or_b32 v2, v3, 16, v2
	v_perm_b32 v3, v9, v10, s10
	v_perm_b32 v7, v7, v8, s10
	v_lshl_or_b32 v0, v14, 16, v12
	v_lshl_or_b32 v3, v7, 16, v3
	ds_write_b128 v84, v[0:3] offset:24576
	s_waitcnt vmcnt(0)
	v_perm_b32 v1, v11, v6, s8
	v_perm_b32 v2, v5, v4, s8
	v_lshl_or_b32 v1, v2, 16, v1
	v_perm_b32 v2, v11, v6, s9
	v_perm_b32 v3, v5, v4, s9
	;; [unrolled: 1-line block ×4, first 2 shown]
	v_lshl_or_b32 v2, v3, 16, v2
	v_perm_b32 v3, v11, v6, s10
	v_perm_b32 v4, v5, v4, s10
	v_lshl_or_b32 v130, v130, 16, v127
	v_lshl_or_b32 v0, v10, 16, v7
	;; [unrolled: 1-line block ×3, first 2 shown]
	ds_write_b128 v84, v[128:131] offset:8192
	v_add_u32_e32 v13, v85, v117
	v_add_u32_e32 v127, v85, v96
	;; [unrolled: 1-line block ×3, first 2 shown]
	ds_write_b128 v84, v[0:3] offset:25088
	v_add_u32_e32 v0, v85, v94
	s_waitcnt lgkmcnt(4)
	v_dot4c_i32_i8_e32 v22, v140, v132
	v_dot4c_i32_i8_e32 v28, v140, v133
	;; [unrolled: 1-line block ×28, first 2 shown]
	v_add_u32_e32 v12, v85, v97
	v_add_u32_e32 v14, v85, v116
	;; [unrolled: 1-line block ×11, first 2 shown]
	buffer_load_dword v3, v13, s[20:23], 0 offen
	buffer_load_dword v4, v14, s[20:23], 0 offen
	;; [unrolled: 1-line block ×3, first 2 shown]
                                        ; kill: killed $vgpr9
                                        ; kill: killed $vgpr14
	buffer_load_dword v6, v8, s[20:23], 0 offen
	buffer_load_dword v134, v7, s[20:23], 0 offen
                                        ; kill: killed $vgpr7
                                        ; kill: killed $vgpr8
	buffer_load_dword v135, v10, s[20:23], 0 offen
	buffer_load_dword v136, v11, s[20:23], 0 offen
                                        ; kill: killed $vgpr11
                                        ; kill: killed $vgpr10
	buffer_load_dword v137, v15, s[20:23], 0 offen
	buffer_load_dword v130, v12, s[16:19], 0 offen
                                        ; kill: killed $vgpr12
                                        ; kill: killed $vgpr15
	buffer_load_dword v131, v127, s[16:19], 0 offen
	buffer_load_dword v132, v128, s[16:19], 0 offen
                                        ; kill: killed $vgpr128
                                        ; kill: killed $vgpr127
	buffer_load_dword v133, v0, s[16:19], 0 offen
	s_nop 0
	buffer_load_dword v127, v1, s[16:19], 0 offen
                                        ; kill: killed $vgpr1
                                        ; kill: killed $vgpr0
	buffer_load_dword v128, v2, s[16:19], 0 offen
	buffer_load_dword v129, v138, s[16:19], 0 offen
	v_add_u32_e32 v0, v85, v90
	v_dot4c_i32_i8_e32 v20, v140, v139
	v_dot4c_i32_i8_e32 v24, v141, v139
	;; [unrolled: 1-line block ×4, first 2 shown]
	buffer_load_dword v138, v0, s[16:19], 0 offen
	s_waitcnt lgkmcnt(0)
	s_barrier
	ds_read_b128 v[8:11], v23 offset:8192
	ds_read_b128 v[12:15], v25 offset:24576
	;; [unrolled: 1-line block ×4, first 2 shown]
	v_add_u32_e32 v90, s15, v90
	v_add_u32_e32 v91, s15, v91
	s_waitcnt lgkmcnt(2)
	v_dot4c_i32_i8_e32 v81, v8, v12
	v_dot4c_i32_i8_e32 v83, v8, v13
	v_dot4c_i32_i8_e32 v82, v8, v14
	v_dot4c_i32_i8_e32 v80, v8, v15
	v_dot4c_i32_i8_e32 v71, v9, v12
	v_dot4c_i32_i8_e32 v74, v9, v13
	v_dot4c_i32_i8_e32 v70, v9, v14
	v_dot4c_i32_i8_e32 v68, v9, v15
	v_dot4c_i32_i8_e32 v66, v10, v12
	v_dot4c_i32_i8_e32 v67, v10, v13
	v_dot4c_i32_i8_e32 v65, v10, v14
	v_dot4c_i32_i8_e32 v64, v10, v15
	v_dot4c_i32_i8_e32 v54, v11, v12
	v_dot4c_i32_i8_e32 v56, v11, v13
	v_dot4c_i32_i8_e32 v53, v11, v14
	v_dot4c_i32_i8_e32 v52, v11, v15
	s_waitcnt lgkmcnt(1)
	v_dot4c_i32_i8_e32 v78, v8, v140
	v_dot4c_i32_i8_e32 v79, v8, v141
	v_dot4c_i32_i8_e32 v77, v8, v142
	v_dot4c_i32_i8_e32 v76, v8, v143
	v_dot4c_i32_i8_e32 v73, v9, v140
	v_dot4c_i32_i8_e32 v75, v9, v141
	v_dot4c_i32_i8_e32 v72, v9, v142
	v_dot4c_i32_i8_e32 v69, v9, v143
	v_dot4c_i32_i8_e32 v62, v10, v140
	v_dot4c_i32_i8_e32 v63, v10, v141
	v_dot4c_i32_i8_e32 v61, v10, v142
	v_dot4c_i32_i8_e32 v60, v10, v143
	v_dot4c_i32_i8_e32 v58, v11, v140
	v_dot4c_i32_i8_e32 v59, v11, v141
	v_dot4c_i32_i8_e32 v57, v11, v142
	v_dot4c_i32_i8_e32 v55, v11, v143
	;; [unrolled: 17-line block ×3, first 2 shown]
	v_dot4c_i32_i8_e32 v27, v144, v140
	v_dot4c_i32_i8_e32 v31, v144, v141
	;; [unrolled: 1-line block ×16, first 2 shown]
	ds_read_b128 v[8:11], v23 offset:8704
	ds_read_b128 v[12:15], v25 offset:25088
	;; [unrolled: 1-line block ×4, first 2 shown]
	s_waitcnt vmcnt(14)
	v_perm_b32 v0, v3, v4, s6
	s_waitcnt vmcnt(12)
	v_perm_b32 v1, v5, v6, s6
	s_waitcnt lgkmcnt(2)
	v_dot4c_i32_i8_e32 v81, v8, v12
	v_dot4c_i32_i8_e32 v83, v8, v13
	v_dot4c_i32_i8_e32 v82, v8, v14
	v_dot4c_i32_i8_e32 v80, v8, v15
	v_dot4c_i32_i8_e32 v71, v9, v12
	v_dot4c_i32_i8_e32 v74, v9, v13
	v_dot4c_i32_i8_e32 v70, v9, v14
	v_dot4c_i32_i8_e32 v68, v9, v15
	v_dot4c_i32_i8_e32 v66, v10, v12
	v_dot4c_i32_i8_e32 v67, v10, v13
	v_dot4c_i32_i8_e32 v65, v10, v14
	v_dot4c_i32_i8_e32 v64, v10, v15
	v_dot4c_i32_i8_e32 v54, v11, v12
	v_dot4c_i32_i8_e32 v56, v11, v13
	v_dot4c_i32_i8_e32 v53, v11, v14
	v_dot4c_i32_i8_e32 v52, v11, v15
	s_waitcnt lgkmcnt(1)
	v_dot4c_i32_i8_e32 v78, v8, v140
	v_dot4c_i32_i8_e32 v79, v8, v141
	v_dot4c_i32_i8_e32 v77, v8, v142
	v_dot4c_i32_i8_e32 v76, v8, v143
	v_dot4c_i32_i8_e32 v73, v9, v140
	v_dot4c_i32_i8_e32 v75, v9, v141
	v_dot4c_i32_i8_e32 v72, v9, v142
	v_dot4c_i32_i8_e32 v69, v9, v143
	v_dot4c_i32_i8_e32 v62, v10, v140
	v_dot4c_i32_i8_e32 v63, v10, v141
	v_dot4c_i32_i8_e32 v61, v10, v142
	v_dot4c_i32_i8_e32 v60, v10, v143
	v_dot4c_i32_i8_e32 v58, v11, v140
	v_dot4c_i32_i8_e32 v59, v11, v141
	v_dot4c_i32_i8_e32 v57, v11, v142
	v_dot4c_i32_i8_e32 v55, v11, v143
	s_waitcnt lgkmcnt(0)
	v_dot4c_i32_i8_e32 v22, v144, v12
	v_dot4c_i32_i8_e32 v28, v144, v13
	v_dot4c_i32_i8_e32 v21, v144, v14
	v_dot4c_i32_i8_e32 v19, v144, v15
	v_dot4c_i32_i8_e32 v38, v145, v12
	v_dot4c_i32_i8_e32 v41, v145, v13
	v_dot4c_i32_i8_e32 v37, v145, v14
	v_dot4c_i32_i8_e32 v34, v145, v15
	v_dot4c_i32_i8_e32 v36, v146, v12
	v_dot4c_i32_i8_e32 v40, v146, v13
	v_dot4c_i32_i8_e32 v35, v146, v14
	v_dot4c_i32_i8_e32 v33, v146, v15
	v_dot4c_i32_i8_e32 v50, v147, v12
	v_dot4c_i32_i8_e32 v51, v147, v13
	v_dot4c_i32_i8_e32 v49, v147, v14
	v_dot4c_i32_i8_e32 v48, v147, v15
	v_dot4c_i32_i8_e32 v27, v144, v140
	v_dot4c_i32_i8_e32 v31, v144, v141
	;; [unrolled: 1-line block ×16, first 2 shown]
	ds_read_b128 v[8:11], v23 offset:9216
	ds_read_b128 v[12:15], v25 offset:25600
	;; [unrolled: 1-line block ×4, first 2 shown]
	v_perm_b32 v2, v3, v4, s8
	v_perm_b32 v7, v5, v6, s8
	s_waitcnt lgkmcnt(2)
	v_dot4c_i32_i8_e32 v81, v8, v12
	v_dot4c_i32_i8_e32 v83, v8, v13
	v_dot4c_i32_i8_e32 v82, v8, v14
	v_dot4c_i32_i8_e32 v80, v8, v15
	v_dot4c_i32_i8_e32 v71, v9, v12
	v_dot4c_i32_i8_e32 v74, v9, v13
	v_dot4c_i32_i8_e32 v70, v9, v14
	v_dot4c_i32_i8_e32 v68, v9, v15
	v_dot4c_i32_i8_e32 v66, v10, v12
	v_dot4c_i32_i8_e32 v67, v10, v13
	v_dot4c_i32_i8_e32 v65, v10, v14
	v_dot4c_i32_i8_e32 v64, v10, v15
	v_dot4c_i32_i8_e32 v54, v11, v12
	v_dot4c_i32_i8_e32 v56, v11, v13
	v_dot4c_i32_i8_e32 v53, v11, v14
	v_dot4c_i32_i8_e32 v52, v11, v15
	s_waitcnt lgkmcnt(1)
	v_dot4c_i32_i8_e32 v78, v8, v140
	v_dot4c_i32_i8_e32 v79, v8, v141
	v_dot4c_i32_i8_e32 v77, v8, v142
	v_dot4c_i32_i8_e32 v76, v8, v143
	v_dot4c_i32_i8_e32 v73, v9, v140
	v_dot4c_i32_i8_e32 v75, v9, v141
	v_dot4c_i32_i8_e32 v72, v9, v142
	v_dot4c_i32_i8_e32 v69, v9, v143
	v_dot4c_i32_i8_e32 v62, v10, v140
	v_dot4c_i32_i8_e32 v63, v10, v141
	v_dot4c_i32_i8_e32 v61, v10, v142
	v_dot4c_i32_i8_e32 v60, v10, v143
	v_dot4c_i32_i8_e32 v58, v11, v140
	v_dot4c_i32_i8_e32 v59, v11, v141
	v_dot4c_i32_i8_e32 v57, v11, v142
	v_dot4c_i32_i8_e32 v55, v11, v143
	;; [unrolled: 17-line block ×3, first 2 shown]
	v_dot4c_i32_i8_e32 v27, v144, v140
	v_dot4c_i32_i8_e32 v31, v144, v141
	;; [unrolled: 1-line block ×16, first 2 shown]
	ds_read_b128 v[8:11], v23 offset:9728
	ds_read_b128 v[12:15], v25 offset:26112
	;; [unrolled: 1-line block ×4, first 2 shown]
	v_lshl_or_b32 v0, v1, 16, v0
	v_lshl_or_b32 v1, v7, 16, v2
	s_waitcnt lgkmcnt(2)
	v_dot4c_i32_i8_e32 v81, v8, v12
	v_dot4c_i32_i8_e32 v83, v8, v13
	v_dot4c_i32_i8_e32 v82, v8, v14
	v_dot4c_i32_i8_e32 v80, v8, v15
	v_dot4c_i32_i8_e32 v71, v9, v12
	v_dot4c_i32_i8_e32 v74, v9, v13
	v_dot4c_i32_i8_e32 v70, v9, v14
	v_dot4c_i32_i8_e32 v68, v9, v15
	v_dot4c_i32_i8_e32 v66, v10, v12
	v_dot4c_i32_i8_e32 v67, v10, v13
	v_dot4c_i32_i8_e32 v65, v10, v14
	v_dot4c_i32_i8_e32 v64, v10, v15
	v_dot4c_i32_i8_e32 v54, v11, v12
	v_dot4c_i32_i8_e32 v56, v11, v13
	v_dot4c_i32_i8_e32 v53, v11, v14
	v_dot4c_i32_i8_e32 v52, v11, v15
	s_waitcnt lgkmcnt(1)
	v_dot4c_i32_i8_e32 v78, v8, v140
	v_dot4c_i32_i8_e32 v79, v8, v141
	v_dot4c_i32_i8_e32 v77, v8, v142
	v_dot4c_i32_i8_e32 v76, v8, v143
	v_dot4c_i32_i8_e32 v73, v9, v140
	v_dot4c_i32_i8_e32 v75, v9, v141
	v_dot4c_i32_i8_e32 v72, v9, v142
	v_dot4c_i32_i8_e32 v69, v9, v143
	v_dot4c_i32_i8_e32 v62, v10, v140
	v_dot4c_i32_i8_e32 v63, v10, v141
	v_dot4c_i32_i8_e32 v61, v10, v142
	v_dot4c_i32_i8_e32 v60, v10, v143
	v_dot4c_i32_i8_e32 v58, v11, v140
	v_dot4c_i32_i8_e32 v59, v11, v141
	v_dot4c_i32_i8_e32 v57, v11, v142
	v_dot4c_i32_i8_e32 v55, v11, v143
	;; [unrolled: 17-line block ×3, first 2 shown]
	v_dot4c_i32_i8_e32 v27, v144, v140
	v_dot4c_i32_i8_e32 v31, v144, v141
	v_dot4c_i32_i8_e32 v26, v144, v142
	v_dot4c_i32_i8_e32 v20, v144, v143
	v_dot4c_i32_i8_e32 v30, v145, v140
	v_dot4c_i32_i8_e32 v32, v145, v141
	v_dot4c_i32_i8_e32 v29, v145, v142
	v_dot4c_i32_i8_e32 v24, v145, v143
	v_dot4c_i32_i8_e32 v45, v146, v140
	v_dot4c_i32_i8_e32 v47, v146, v141
	v_dot4c_i32_i8_e32 v44, v146, v142
	v_dot4c_i32_i8_e32 v39, v146, v143
	v_dot4c_i32_i8_e32 v43, v147, v140
	v_dot4c_i32_i8_e32 v46, v147, v141
	v_dot4c_i32_i8_e32 v42, v147, v142
	v_dot4c_i32_i8_e32 v18, v147, v143
	ds_read_b128 v[8:11], v23 offset:10240
	ds_read_b128 v[12:15], v25 offset:26624
	;; [unrolled: 1-line block ×4, first 2 shown]
	v_perm_b32 v2, v3, v4, s9
	v_perm_b32 v7, v5, v6, s9
	s_waitcnt lgkmcnt(2)
	v_dot4c_i32_i8_e32 v81, v8, v12
	v_dot4c_i32_i8_e32 v83, v8, v13
	v_dot4c_i32_i8_e32 v82, v8, v14
	v_dot4c_i32_i8_e32 v80, v8, v15
	v_dot4c_i32_i8_e32 v71, v9, v12
	v_dot4c_i32_i8_e32 v74, v9, v13
	v_dot4c_i32_i8_e32 v70, v9, v14
	v_dot4c_i32_i8_e32 v68, v9, v15
	v_dot4c_i32_i8_e32 v66, v10, v12
	v_dot4c_i32_i8_e32 v67, v10, v13
	v_dot4c_i32_i8_e32 v65, v10, v14
	v_dot4c_i32_i8_e32 v64, v10, v15
	v_dot4c_i32_i8_e32 v54, v11, v12
	v_dot4c_i32_i8_e32 v56, v11, v13
	v_dot4c_i32_i8_e32 v53, v11, v14
	v_dot4c_i32_i8_e32 v52, v11, v15
	s_waitcnt lgkmcnt(1)
	v_dot4c_i32_i8_e32 v78, v8, v140
	v_dot4c_i32_i8_e32 v79, v8, v141
	v_dot4c_i32_i8_e32 v77, v8, v142
	v_dot4c_i32_i8_e32 v76, v8, v143
	v_dot4c_i32_i8_e32 v73, v9, v140
	v_dot4c_i32_i8_e32 v75, v9, v141
	v_dot4c_i32_i8_e32 v72, v9, v142
	v_dot4c_i32_i8_e32 v69, v9, v143
	v_dot4c_i32_i8_e32 v62, v10, v140
	v_dot4c_i32_i8_e32 v63, v10, v141
	v_dot4c_i32_i8_e32 v61, v10, v142
	v_dot4c_i32_i8_e32 v60, v10, v143
	v_dot4c_i32_i8_e32 v58, v11, v140
	v_dot4c_i32_i8_e32 v59, v11, v141
	v_dot4c_i32_i8_e32 v57, v11, v142
	v_dot4c_i32_i8_e32 v55, v11, v143
	;; [unrolled: 17-line block ×3, first 2 shown]
	v_dot4c_i32_i8_e32 v27, v144, v140
	v_dot4c_i32_i8_e32 v31, v144, v141
	v_dot4c_i32_i8_e32 v26, v144, v142
	v_dot4c_i32_i8_e32 v20, v144, v143
	v_dot4c_i32_i8_e32 v30, v145, v140
	v_dot4c_i32_i8_e32 v32, v145, v141
	v_dot4c_i32_i8_e32 v29, v145, v142
	v_dot4c_i32_i8_e32 v24, v145, v143
	v_dot4c_i32_i8_e32 v45, v146, v140
	v_dot4c_i32_i8_e32 v47, v146, v141
	v_dot4c_i32_i8_e32 v44, v146, v142
	v_dot4c_i32_i8_e32 v39, v146, v143
	v_dot4c_i32_i8_e32 v43, v147, v140
	v_dot4c_i32_i8_e32 v46, v147, v141
	v_dot4c_i32_i8_e32 v42, v147, v142
	v_dot4c_i32_i8_e32 v18, v147, v143
	ds_read_b128 v[8:11], v23 offset:10752
	ds_read_b128 v[12:15], v25 offset:27136
	;; [unrolled: 1-line block ×4, first 2 shown]
	v_perm_b32 v3, v3, v4, s10
	v_perm_b32 v4, v5, v6, s10
	s_waitcnt lgkmcnt(2)
	v_dot4c_i32_i8_e32 v81, v8, v12
	v_dot4c_i32_i8_e32 v83, v8, v13
	v_dot4c_i32_i8_e32 v82, v8, v14
	v_dot4c_i32_i8_e32 v80, v8, v15
	v_dot4c_i32_i8_e32 v71, v9, v12
	v_dot4c_i32_i8_e32 v74, v9, v13
	v_dot4c_i32_i8_e32 v70, v9, v14
	v_dot4c_i32_i8_e32 v68, v9, v15
	v_dot4c_i32_i8_e32 v66, v10, v12
	v_dot4c_i32_i8_e32 v67, v10, v13
	v_dot4c_i32_i8_e32 v65, v10, v14
	v_dot4c_i32_i8_e32 v64, v10, v15
	v_dot4c_i32_i8_e32 v54, v11, v12
	v_dot4c_i32_i8_e32 v56, v11, v13
	v_dot4c_i32_i8_e32 v53, v11, v14
	v_dot4c_i32_i8_e32 v52, v11, v15
	s_waitcnt lgkmcnt(1)
	v_dot4c_i32_i8_e32 v78, v8, v140
	v_dot4c_i32_i8_e32 v79, v8, v141
	v_dot4c_i32_i8_e32 v77, v8, v142
	v_dot4c_i32_i8_e32 v76, v8, v143
	v_dot4c_i32_i8_e32 v73, v9, v140
	v_dot4c_i32_i8_e32 v75, v9, v141
	v_dot4c_i32_i8_e32 v72, v9, v142
	v_dot4c_i32_i8_e32 v69, v9, v143
	v_dot4c_i32_i8_e32 v62, v10, v140
	v_dot4c_i32_i8_e32 v63, v10, v141
	v_dot4c_i32_i8_e32 v61, v10, v142
	v_dot4c_i32_i8_e32 v60, v10, v143
	v_dot4c_i32_i8_e32 v58, v11, v140
	v_dot4c_i32_i8_e32 v59, v11, v141
	v_dot4c_i32_i8_e32 v57, v11, v142
	v_dot4c_i32_i8_e32 v55, v11, v143
	;; [unrolled: 17-line block ×3, first 2 shown]
	v_dot4c_i32_i8_e32 v27, v144, v140
	v_dot4c_i32_i8_e32 v31, v144, v141
	v_dot4c_i32_i8_e32 v26, v144, v142
	v_dot4c_i32_i8_e32 v20, v144, v143
	v_dot4c_i32_i8_e32 v30, v145, v140
	v_dot4c_i32_i8_e32 v32, v145, v141
	v_dot4c_i32_i8_e32 v29, v145, v142
	v_dot4c_i32_i8_e32 v24, v145, v143
	v_dot4c_i32_i8_e32 v45, v146, v140
	v_dot4c_i32_i8_e32 v47, v146, v141
	v_dot4c_i32_i8_e32 v44, v146, v142
	v_dot4c_i32_i8_e32 v39, v146, v143
	v_dot4c_i32_i8_e32 v43, v147, v140
	v_dot4c_i32_i8_e32 v46, v147, v141
	v_dot4c_i32_i8_e32 v42, v147, v142
	v_dot4c_i32_i8_e32 v18, v147, v143
	ds_read_b128 v[8:11], v23 offset:11264
	ds_read_b128 v[12:15], v25 offset:27648
	;; [unrolled: 1-line block ×4, first 2 shown]
	v_lshl_or_b32 v2, v7, 16, v2
	v_lshl_or_b32 v3, v4, 16, v3
	s_waitcnt lgkmcnt(2)
	v_dot4c_i32_i8_e32 v81, v8, v12
	v_dot4c_i32_i8_e32 v83, v8, v13
	v_dot4c_i32_i8_e32 v82, v8, v14
	v_dot4c_i32_i8_e32 v80, v8, v15
	v_dot4c_i32_i8_e32 v71, v9, v12
	v_dot4c_i32_i8_e32 v74, v9, v13
	v_dot4c_i32_i8_e32 v70, v9, v14
	v_dot4c_i32_i8_e32 v68, v9, v15
	v_dot4c_i32_i8_e32 v66, v10, v12
	v_dot4c_i32_i8_e32 v67, v10, v13
	v_dot4c_i32_i8_e32 v65, v10, v14
	v_dot4c_i32_i8_e32 v64, v10, v15
	v_dot4c_i32_i8_e32 v54, v11, v12
	v_dot4c_i32_i8_e32 v56, v11, v13
	v_dot4c_i32_i8_e32 v53, v11, v14
	v_dot4c_i32_i8_e32 v52, v11, v15
	s_waitcnt lgkmcnt(1)
	v_dot4c_i32_i8_e32 v78, v8, v140
	v_dot4c_i32_i8_e32 v79, v8, v141
	v_dot4c_i32_i8_e32 v77, v8, v142
	v_dot4c_i32_i8_e32 v76, v8, v143
	v_dot4c_i32_i8_e32 v73, v9, v140
	v_dot4c_i32_i8_e32 v75, v9, v141
	v_dot4c_i32_i8_e32 v72, v9, v142
	v_dot4c_i32_i8_e32 v69, v9, v143
	v_dot4c_i32_i8_e32 v62, v10, v140
	v_dot4c_i32_i8_e32 v63, v10, v141
	v_dot4c_i32_i8_e32 v61, v10, v142
	v_dot4c_i32_i8_e32 v60, v10, v143
	v_dot4c_i32_i8_e32 v58, v11, v140
	v_dot4c_i32_i8_e32 v59, v11, v141
	v_dot4c_i32_i8_e32 v57, v11, v142
	v_dot4c_i32_i8_e32 v55, v11, v143
	;; [unrolled: 17-line block ×3, first 2 shown]
	v_dot4c_i32_i8_e32 v27, v144, v140
	v_dot4c_i32_i8_e32 v31, v144, v141
	;; [unrolled: 1-line block ×16, first 2 shown]
	ds_read_b128 v[8:11], v23 offset:11776
	ds_read_b128 v[12:15], v25 offset:28160
	;; [unrolled: 1-line block ×4, first 2 shown]
	v_add_u32_e32 v92, s15, v92
	v_add_u32_e32 v93, s15, v93
	s_waitcnt lgkmcnt(2)
	v_dot4c_i32_i8_e32 v81, v8, v12
	v_dot4c_i32_i8_e32 v83, v8, v13
	v_dot4c_i32_i8_e32 v82, v8, v14
	v_dot4c_i32_i8_e32 v80, v8, v15
	v_dot4c_i32_i8_e32 v71, v9, v12
	v_dot4c_i32_i8_e32 v74, v9, v13
	v_dot4c_i32_i8_e32 v70, v9, v14
	v_dot4c_i32_i8_e32 v68, v9, v15
	v_dot4c_i32_i8_e32 v66, v10, v12
	v_dot4c_i32_i8_e32 v67, v10, v13
	v_dot4c_i32_i8_e32 v65, v10, v14
	v_dot4c_i32_i8_e32 v64, v10, v15
	v_dot4c_i32_i8_e32 v54, v11, v12
	v_dot4c_i32_i8_e32 v56, v11, v13
	v_dot4c_i32_i8_e32 v53, v11, v14
	v_dot4c_i32_i8_e32 v52, v11, v15
	s_waitcnt lgkmcnt(1)
	v_dot4c_i32_i8_e32 v78, v8, v140
	v_dot4c_i32_i8_e32 v79, v8, v141
	v_dot4c_i32_i8_e32 v77, v8, v142
	v_dot4c_i32_i8_e32 v76, v8, v143
	v_dot4c_i32_i8_e32 v73, v9, v140
	v_dot4c_i32_i8_e32 v75, v9, v141
	v_dot4c_i32_i8_e32 v72, v9, v142
	v_dot4c_i32_i8_e32 v69, v9, v143
	v_dot4c_i32_i8_e32 v62, v10, v140
	v_dot4c_i32_i8_e32 v63, v10, v141
	v_dot4c_i32_i8_e32 v61, v10, v142
	v_dot4c_i32_i8_e32 v60, v10, v143
	v_dot4c_i32_i8_e32 v58, v11, v140
	v_dot4c_i32_i8_e32 v59, v11, v141
	v_dot4c_i32_i8_e32 v57, v11, v142
	v_dot4c_i32_i8_e32 v55, v11, v143
	;; [unrolled: 17-line block ×3, first 2 shown]
	v_dot4c_i32_i8_e32 v27, v144, v140
	v_dot4c_i32_i8_e32 v31, v144, v141
	;; [unrolled: 1-line block ×16, first 2 shown]
	ds_read_b128 v[8:11], v23 offset:12288
	ds_read_b128 v[12:15], v25 offset:28672
	;; [unrolled: 1-line block ×4, first 2 shown]
	v_add_u32_e32 v94, s15, v94
	v_add_u32_e32 v95, s15, v95
	s_waitcnt lgkmcnt(2)
	v_dot4c_i32_i8_e32 v81, v8, v12
	v_dot4c_i32_i8_e32 v83, v8, v13
	v_dot4c_i32_i8_e32 v82, v8, v14
	v_dot4c_i32_i8_e32 v80, v8, v15
	v_dot4c_i32_i8_e32 v71, v9, v12
	v_dot4c_i32_i8_e32 v74, v9, v13
	v_dot4c_i32_i8_e32 v70, v9, v14
	v_dot4c_i32_i8_e32 v68, v9, v15
	v_dot4c_i32_i8_e32 v66, v10, v12
	v_dot4c_i32_i8_e32 v67, v10, v13
	v_dot4c_i32_i8_e32 v65, v10, v14
	v_dot4c_i32_i8_e32 v64, v10, v15
	v_dot4c_i32_i8_e32 v54, v11, v12
	v_dot4c_i32_i8_e32 v56, v11, v13
	v_dot4c_i32_i8_e32 v53, v11, v14
	v_dot4c_i32_i8_e32 v52, v11, v15
	s_waitcnt lgkmcnt(1)
	v_dot4c_i32_i8_e32 v78, v8, v140
	v_dot4c_i32_i8_e32 v79, v8, v141
	v_dot4c_i32_i8_e32 v77, v8, v142
	v_dot4c_i32_i8_e32 v76, v8, v143
	v_dot4c_i32_i8_e32 v73, v9, v140
	v_dot4c_i32_i8_e32 v75, v9, v141
	v_dot4c_i32_i8_e32 v72, v9, v142
	v_dot4c_i32_i8_e32 v69, v9, v143
	v_dot4c_i32_i8_e32 v62, v10, v140
	v_dot4c_i32_i8_e32 v63, v10, v141
	v_dot4c_i32_i8_e32 v61, v10, v142
	v_dot4c_i32_i8_e32 v60, v10, v143
	v_dot4c_i32_i8_e32 v58, v11, v140
	v_dot4c_i32_i8_e32 v59, v11, v141
	v_dot4c_i32_i8_e32 v57, v11, v142
	v_dot4c_i32_i8_e32 v55, v11, v143
	;; [unrolled: 17-line block ×3, first 2 shown]
	v_dot4c_i32_i8_e32 v27, v144, v140
	v_dot4c_i32_i8_e32 v31, v144, v141
	;; [unrolled: 1-line block ×16, first 2 shown]
	ds_read_b128 v[8:11], v23 offset:12800
	ds_read_b128 v[12:15], v25 offset:29184
	;; [unrolled: 1-line block ×4, first 2 shown]
	v_add_u32_e32 v96, s15, v96
	v_add_u32_e32 v97, s15, v97
	s_waitcnt lgkmcnt(2)
	v_dot4c_i32_i8_e32 v81, v8, v12
	v_dot4c_i32_i8_e32 v83, v8, v13
	v_dot4c_i32_i8_e32 v82, v8, v14
	v_dot4c_i32_i8_e32 v80, v8, v15
	v_dot4c_i32_i8_e32 v71, v9, v12
	v_dot4c_i32_i8_e32 v74, v9, v13
	v_dot4c_i32_i8_e32 v70, v9, v14
	v_dot4c_i32_i8_e32 v68, v9, v15
	v_dot4c_i32_i8_e32 v66, v10, v12
	v_dot4c_i32_i8_e32 v67, v10, v13
	v_dot4c_i32_i8_e32 v65, v10, v14
	v_dot4c_i32_i8_e32 v64, v10, v15
	v_dot4c_i32_i8_e32 v54, v11, v12
	v_dot4c_i32_i8_e32 v56, v11, v13
	v_dot4c_i32_i8_e32 v53, v11, v14
	v_dot4c_i32_i8_e32 v52, v11, v15
	s_waitcnt lgkmcnt(1)
	v_dot4c_i32_i8_e32 v78, v8, v140
	v_dot4c_i32_i8_e32 v79, v8, v141
	v_dot4c_i32_i8_e32 v77, v8, v142
	v_dot4c_i32_i8_e32 v76, v8, v143
	v_dot4c_i32_i8_e32 v73, v9, v140
	v_dot4c_i32_i8_e32 v75, v9, v141
	v_dot4c_i32_i8_e32 v72, v9, v142
	v_dot4c_i32_i8_e32 v69, v9, v143
	v_dot4c_i32_i8_e32 v62, v10, v140
	v_dot4c_i32_i8_e32 v63, v10, v141
	v_dot4c_i32_i8_e32 v61, v10, v142
	v_dot4c_i32_i8_e32 v60, v10, v143
	v_dot4c_i32_i8_e32 v58, v11, v140
	v_dot4c_i32_i8_e32 v59, v11, v141
	v_dot4c_i32_i8_e32 v57, v11, v142
	v_dot4c_i32_i8_e32 v55, v11, v143
	;; [unrolled: 17-line block ×3, first 2 shown]
	v_dot4c_i32_i8_e32 v27, v144, v140
	v_dot4c_i32_i8_e32 v31, v144, v141
	;; [unrolled: 1-line block ×16, first 2 shown]
	ds_read_b128 v[8:11], v23 offset:13312
	ds_read_b128 v[12:15], v25 offset:29696
	ds_read_b128 v[140:143], v25 offset:29952
	ds_read_b128 v[144:147], v23 offset:13568
	v_add_u32_e32 v110, s24, v110
	v_add_u32_e32 v111, s24, v111
	s_waitcnt lgkmcnt(2)
	v_dot4c_i32_i8_e32 v81, v8, v12
	v_dot4c_i32_i8_e32 v83, v8, v13
	v_dot4c_i32_i8_e32 v82, v8, v14
	v_dot4c_i32_i8_e32 v80, v8, v15
	v_dot4c_i32_i8_e32 v71, v9, v12
	v_dot4c_i32_i8_e32 v74, v9, v13
	v_dot4c_i32_i8_e32 v70, v9, v14
	v_dot4c_i32_i8_e32 v68, v9, v15
	v_dot4c_i32_i8_e32 v66, v10, v12
	v_dot4c_i32_i8_e32 v67, v10, v13
	v_dot4c_i32_i8_e32 v65, v10, v14
	v_dot4c_i32_i8_e32 v64, v10, v15
	v_dot4c_i32_i8_e32 v54, v11, v12
	v_dot4c_i32_i8_e32 v56, v11, v13
	v_dot4c_i32_i8_e32 v53, v11, v14
	v_dot4c_i32_i8_e32 v52, v11, v15
	s_waitcnt lgkmcnt(1)
	v_dot4c_i32_i8_e32 v78, v8, v140
	v_dot4c_i32_i8_e32 v79, v8, v141
	v_dot4c_i32_i8_e32 v77, v8, v142
	v_dot4c_i32_i8_e32 v76, v8, v143
	v_dot4c_i32_i8_e32 v73, v9, v140
	v_dot4c_i32_i8_e32 v75, v9, v141
	v_dot4c_i32_i8_e32 v72, v9, v142
	v_dot4c_i32_i8_e32 v69, v9, v143
	v_dot4c_i32_i8_e32 v62, v10, v140
	v_dot4c_i32_i8_e32 v63, v10, v141
	v_dot4c_i32_i8_e32 v61, v10, v142
	v_dot4c_i32_i8_e32 v60, v10, v143
	v_dot4c_i32_i8_e32 v58, v11, v140
	v_dot4c_i32_i8_e32 v59, v11, v141
	v_dot4c_i32_i8_e32 v57, v11, v142
	v_dot4c_i32_i8_e32 v55, v11, v143
	;; [unrolled: 17-line block ×3, first 2 shown]
	v_dot4c_i32_i8_e32 v27, v144, v140
	v_dot4c_i32_i8_e32 v31, v144, v141
	;; [unrolled: 1-line block ×16, first 2 shown]
	ds_read_b128 v[8:11], v23 offset:13824
	ds_read_b128 v[12:15], v25 offset:30208
	;; [unrolled: 1-line block ×4, first 2 shown]
	v_add_u32_e32 v112, s24, v112
	v_add_u32_e32 v113, s24, v113
	s_waitcnt lgkmcnt(2)
	v_dot4c_i32_i8_e32 v81, v8, v12
	v_dot4c_i32_i8_e32 v83, v8, v13
	v_dot4c_i32_i8_e32 v82, v8, v14
	v_dot4c_i32_i8_e32 v80, v8, v15
	v_dot4c_i32_i8_e32 v71, v9, v12
	v_dot4c_i32_i8_e32 v74, v9, v13
	v_dot4c_i32_i8_e32 v70, v9, v14
	v_dot4c_i32_i8_e32 v68, v9, v15
	v_dot4c_i32_i8_e32 v66, v10, v12
	v_dot4c_i32_i8_e32 v67, v10, v13
	v_dot4c_i32_i8_e32 v65, v10, v14
	v_dot4c_i32_i8_e32 v64, v10, v15
	v_dot4c_i32_i8_e32 v54, v11, v12
	v_dot4c_i32_i8_e32 v56, v11, v13
	v_dot4c_i32_i8_e32 v53, v11, v14
	v_dot4c_i32_i8_e32 v52, v11, v15
	s_waitcnt lgkmcnt(1)
	v_dot4c_i32_i8_e32 v78, v8, v140
	v_dot4c_i32_i8_e32 v79, v8, v141
	v_dot4c_i32_i8_e32 v77, v8, v142
	v_dot4c_i32_i8_e32 v76, v8, v143
	v_dot4c_i32_i8_e32 v73, v9, v140
	v_dot4c_i32_i8_e32 v75, v9, v141
	v_dot4c_i32_i8_e32 v72, v9, v142
	v_dot4c_i32_i8_e32 v69, v9, v143
	v_dot4c_i32_i8_e32 v62, v10, v140
	v_dot4c_i32_i8_e32 v63, v10, v141
	v_dot4c_i32_i8_e32 v61, v10, v142
	v_dot4c_i32_i8_e32 v60, v10, v143
	v_dot4c_i32_i8_e32 v58, v11, v140
	v_dot4c_i32_i8_e32 v59, v11, v141
	v_dot4c_i32_i8_e32 v57, v11, v142
	v_dot4c_i32_i8_e32 v55, v11, v143
	s_waitcnt lgkmcnt(0)
	v_dot4c_i32_i8_e32 v22, v144, v12
	v_dot4c_i32_i8_e32 v28, v144, v13
	v_dot4c_i32_i8_e32 v21, v144, v14
	v_dot4c_i32_i8_e32 v19, v144, v15
	v_dot4c_i32_i8_e32 v38, v145, v12
	v_dot4c_i32_i8_e32 v41, v145, v13
	v_dot4c_i32_i8_e32 v37, v145, v14
	v_dot4c_i32_i8_e32 v34, v145, v15
	v_dot4c_i32_i8_e32 v36, v146, v12
	v_dot4c_i32_i8_e32 v40, v146, v13
	v_dot4c_i32_i8_e32 v35, v146, v14
	v_dot4c_i32_i8_e32 v33, v146, v15
	v_dot4c_i32_i8_e32 v50, v147, v12
	v_dot4c_i32_i8_e32 v51, v147, v13
	v_dot4c_i32_i8_e32 v49, v147, v14
	v_dot4c_i32_i8_e32 v48, v147, v15
	v_dot4c_i32_i8_e32 v27, v144, v140
	v_dot4c_i32_i8_e32 v31, v144, v141
	;; [unrolled: 1-line block ×16, first 2 shown]
	ds_read_b128 v[8:11], v23 offset:14336
	ds_read_b128 v[12:15], v25 offset:30720
	;; [unrolled: 1-line block ×4, first 2 shown]
	v_add_u32_e32 v114, s24, v114
	v_add_u32_e32 v115, s24, v115
	s_waitcnt lgkmcnt(2)
	v_dot4c_i32_i8_e32 v81, v8, v12
	v_dot4c_i32_i8_e32 v83, v8, v13
	v_dot4c_i32_i8_e32 v82, v8, v14
	v_dot4c_i32_i8_e32 v80, v8, v15
	v_dot4c_i32_i8_e32 v71, v9, v12
	v_dot4c_i32_i8_e32 v74, v9, v13
	v_dot4c_i32_i8_e32 v70, v9, v14
	v_dot4c_i32_i8_e32 v68, v9, v15
	v_dot4c_i32_i8_e32 v66, v10, v12
	v_dot4c_i32_i8_e32 v67, v10, v13
	v_dot4c_i32_i8_e32 v65, v10, v14
	v_dot4c_i32_i8_e32 v64, v10, v15
	v_dot4c_i32_i8_e32 v54, v11, v12
	v_dot4c_i32_i8_e32 v56, v11, v13
	v_dot4c_i32_i8_e32 v53, v11, v14
	v_dot4c_i32_i8_e32 v52, v11, v15
	s_waitcnt lgkmcnt(1)
	v_dot4c_i32_i8_e32 v78, v8, v140
	v_dot4c_i32_i8_e32 v79, v8, v141
	v_dot4c_i32_i8_e32 v77, v8, v142
	v_dot4c_i32_i8_e32 v76, v8, v143
	v_dot4c_i32_i8_e32 v73, v9, v140
	v_dot4c_i32_i8_e32 v75, v9, v141
	v_dot4c_i32_i8_e32 v72, v9, v142
	v_dot4c_i32_i8_e32 v69, v9, v143
	v_dot4c_i32_i8_e32 v62, v10, v140
	v_dot4c_i32_i8_e32 v63, v10, v141
	v_dot4c_i32_i8_e32 v61, v10, v142
	v_dot4c_i32_i8_e32 v60, v10, v143
	v_dot4c_i32_i8_e32 v58, v11, v140
	v_dot4c_i32_i8_e32 v59, v11, v141
	v_dot4c_i32_i8_e32 v57, v11, v142
	v_dot4c_i32_i8_e32 v55, v11, v143
	;; [unrolled: 17-line block ×3, first 2 shown]
	v_dot4c_i32_i8_e32 v27, v144, v140
	v_dot4c_i32_i8_e32 v31, v144, v141
	;; [unrolled: 1-line block ×16, first 2 shown]
	ds_read_b128 v[8:11], v23 offset:14848
	ds_read_b128 v[12:15], v25 offset:31232
	;; [unrolled: 1-line block ×4, first 2 shown]
	v_add_u32_e32 v116, s24, v116
	v_add_u32_e32 v117, s24, v117
	s_waitcnt lgkmcnt(2)
	v_dot4c_i32_i8_e32 v81, v8, v12
	v_dot4c_i32_i8_e32 v83, v8, v13
	v_dot4c_i32_i8_e32 v82, v8, v14
	v_dot4c_i32_i8_e32 v80, v8, v15
	v_dot4c_i32_i8_e32 v71, v9, v12
	v_dot4c_i32_i8_e32 v74, v9, v13
	v_dot4c_i32_i8_e32 v70, v9, v14
	v_dot4c_i32_i8_e32 v68, v9, v15
	v_dot4c_i32_i8_e32 v66, v10, v12
	v_dot4c_i32_i8_e32 v67, v10, v13
	v_dot4c_i32_i8_e32 v65, v10, v14
	v_dot4c_i32_i8_e32 v64, v10, v15
	v_dot4c_i32_i8_e32 v54, v11, v12
	v_dot4c_i32_i8_e32 v56, v11, v13
	v_dot4c_i32_i8_e32 v53, v11, v14
	v_dot4c_i32_i8_e32 v52, v11, v15
	s_waitcnt lgkmcnt(1)
	v_dot4c_i32_i8_e32 v78, v8, v140
	v_dot4c_i32_i8_e32 v79, v8, v141
	v_dot4c_i32_i8_e32 v77, v8, v142
	v_dot4c_i32_i8_e32 v76, v8, v143
	v_dot4c_i32_i8_e32 v73, v9, v140
	v_dot4c_i32_i8_e32 v75, v9, v141
	v_dot4c_i32_i8_e32 v72, v9, v142
	v_dot4c_i32_i8_e32 v69, v9, v143
	v_dot4c_i32_i8_e32 v62, v10, v140
	v_dot4c_i32_i8_e32 v63, v10, v141
	v_dot4c_i32_i8_e32 v61, v10, v142
	v_dot4c_i32_i8_e32 v60, v10, v143
	v_dot4c_i32_i8_e32 v58, v11, v140
	v_dot4c_i32_i8_e32 v59, v11, v141
	v_dot4c_i32_i8_e32 v57, v11, v142
	v_dot4c_i32_i8_e32 v55, v11, v143
	;; [unrolled: 17-line block ×3, first 2 shown]
	v_dot4c_i32_i8_e32 v27, v144, v140
	v_dot4c_i32_i8_e32 v31, v144, v141
	;; [unrolled: 1-line block ×16, first 2 shown]
	ds_read_b128 v[8:11], v23 offset:15360
	ds_read_b128 v[12:15], v25 offset:31744
	ds_read_b128 v[140:143], v25 offset:32000
	ds_read_b128 v[144:147], v23 offset:15616
	s_waitcnt lgkmcnt(2)
	v_dot4c_i32_i8_e32 v81, v8, v12
	v_dot4c_i32_i8_e32 v83, v8, v13
	v_dot4c_i32_i8_e32 v82, v8, v14
	v_dot4c_i32_i8_e32 v80, v8, v15
	v_dot4c_i32_i8_e32 v71, v9, v12
	v_dot4c_i32_i8_e32 v74, v9, v13
	v_dot4c_i32_i8_e32 v70, v9, v14
	v_dot4c_i32_i8_e32 v68, v9, v15
	v_dot4c_i32_i8_e32 v66, v10, v12
	v_dot4c_i32_i8_e32 v67, v10, v13
	v_dot4c_i32_i8_e32 v65, v10, v14
	v_dot4c_i32_i8_e32 v64, v10, v15
	v_dot4c_i32_i8_e32 v54, v11, v12
	v_dot4c_i32_i8_e32 v56, v11, v13
	v_dot4c_i32_i8_e32 v53, v11, v14
	v_dot4c_i32_i8_e32 v52, v11, v15
	s_waitcnt lgkmcnt(1)
	v_dot4c_i32_i8_e32 v78, v8, v140
	v_dot4c_i32_i8_e32 v79, v8, v141
	v_dot4c_i32_i8_e32 v77, v8, v142
	v_dot4c_i32_i8_e32 v76, v8, v143
	v_dot4c_i32_i8_e32 v73, v9, v140
	v_dot4c_i32_i8_e32 v75, v9, v141
	v_dot4c_i32_i8_e32 v72, v9, v142
	v_dot4c_i32_i8_e32 v69, v9, v143
	v_dot4c_i32_i8_e32 v62, v10, v140
	v_dot4c_i32_i8_e32 v63, v10, v141
	v_dot4c_i32_i8_e32 v61, v10, v142
	v_dot4c_i32_i8_e32 v60, v10, v143
	v_dot4c_i32_i8_e32 v58, v11, v140
	v_dot4c_i32_i8_e32 v59, v11, v141
	v_dot4c_i32_i8_e32 v57, v11, v142
	v_dot4c_i32_i8_e32 v55, v11, v143
	;; [unrolled: 17-line block ×3, first 2 shown]
	v_dot4c_i32_i8_e32 v27, v144, v140
	v_dot4c_i32_i8_e32 v31, v144, v141
	;; [unrolled: 1-line block ×16, first 2 shown]
	ds_read_b128 v[12:15], v25 offset:32256
	ds_read_b128 v[4:7], v25 offset:32512
	;; [unrolled: 1-line block ×4, first 2 shown]
	ds_write_b128 v84, v[0:3]
	s_waitcnt vmcnt(8)
	v_perm_b32 v0, v137, v136, s6
	v_perm_b32 v1, v135, v134, s6
	v_perm_b32 v2, v137, v136, s8
	v_perm_b32 v3, v135, v134, s8
	v_lshl_or_b32 v0, v1, 16, v0
	v_lshl_or_b32 v1, v3, 16, v2
	v_perm_b32 v2, v137, v136, s9
	v_perm_b32 v3, v135, v134, s9
	v_lshl_or_b32 v2, v3, 16, v2
	v_perm_b32 v3, v137, v136, s10
	v_perm_b32 v134, v135, v134, s10
	v_lshl_or_b32 v3, v134, 16, v3
	ds_write_b128 v84, v[0:3] offset:512
	s_waitcnt vmcnt(6)
	v_perm_b32 v0, v130, v131, s6
	s_waitcnt vmcnt(4)
	v_perm_b32 v1, v132, v133, s6
	v_perm_b32 v2, v130, v131, s8
	;; [unrolled: 1-line block ×3, first 2 shown]
	v_lshl_or_b32 v0, v1, 16, v0
	v_lshl_or_b32 v1, v3, 16, v2
	v_perm_b32 v2, v130, v131, s9
	v_perm_b32 v3, v132, v133, s9
	v_lshl_or_b32 v2, v3, 16, v2
	v_perm_b32 v3, v130, v131, s10
	v_perm_b32 v130, v132, v133, s10
	v_lshl_or_b32 v3, v130, 16, v3
	ds_write_b128 v84, v[0:3] offset:16384
	s_waitcnt vmcnt(0)
	v_perm_b32 v0, v138, v129, s6
	v_perm_b32 v1, v128, v127, s6
	;; [unrolled: 1-line block ×4, first 2 shown]
	v_lshl_or_b32 v0, v1, 16, v0
	v_lshl_or_b32 v1, v3, 16, v2
	v_perm_b32 v2, v138, v129, s9
	v_perm_b32 v3, v128, v127, s9
	v_lshl_or_b32 v2, v3, 16, v2
	v_perm_b32 v3, v138, v129, s10
	v_perm_b32 v127, v128, v127, s10
	v_lshl_or_b32 v3, v127, 16, v3
	s_waitcnt lgkmcnt(4)
	v_dot4c_i32_i8_e32 v81, v140, v12
	v_dot4c_i32_i8_e32 v83, v140, v13
	;; [unrolled: 1-line block ×32, first 2 shown]
	s_waitcnt lgkmcnt(3)
	v_dot4c_i32_i8_e32 v22, v8, v12
	v_dot4c_i32_i8_e32 v28, v8, v13
	;; [unrolled: 1-line block ×32, first 2 shown]
	ds_write_b128 v84, v[0:3] offset:16896
	s_cbranch_vccnz .LBB1_1
; %bb.2:
	s_mul_i32 s6, s5, 60
	s_mul_i32 s8, s7, 60
	v_add3_u32 v4, v85, v109, s8
	v_add3_u32 v94, v85, v89, s6
	;; [unrolled: 1-line block ×8, first 2 shown]
	v_add_u32_e32 v12, s2, v7
	v_add_u32_e32 v97, s4, v85
	v_subrev_u32_e32 v13, s7, v12
	v_subrev_u32_e32 v98, s5, v97
	;; [unrolled: 1-line block ×6, first 2 shown]
	s_waitcnt lgkmcnt(0)
	s_barrier
	buffer_load_dword v8, v4, s[20:23], 0 offen
	buffer_load_dword v9, v5, s[20:23], 0 offen
	;; [unrolled: 1-line block ×8, first 2 shown]
	ds_read_b128 v[86:89], v23
	ds_read_b128 v[90:93], v25 offset:16384
	buffer_load_dword v12, v94, s[16:19], 0 offen
	buffer_load_dword v13, v95, s[16:19], 0 offen
	;; [unrolled: 1-line block ×8, first 2 shown]
	ds_read_b128 v[94:97], v25 offset:16640
	ds_read_b128 v[98:101], v23 offset:256
	s_mov_b32 s2, 0xc0c0004
	s_mov_b32 s4, 0xc0c0105
	s_waitcnt lgkmcnt(2)
	v_dot4c_i32_i8_e32 v81, v86, v90
	v_dot4c_i32_i8_e32 v83, v86, v91
	;; [unrolled: 1-line block ×16, first 2 shown]
	s_waitcnt lgkmcnt(1)
	v_dot4c_i32_i8_e32 v78, v86, v94
	v_dot4c_i32_i8_e32 v79, v86, v95
	;; [unrolled: 1-line block ×16, first 2 shown]
	ds_read_b128 v[86:89], v23 offset:512
	s_waitcnt lgkmcnt(1)
	v_dot4c_i32_i8_e32 v22, v98, v90
	v_dot4c_i32_i8_e32 v28, v98, v91
	;; [unrolled: 1-line block ×16, first 2 shown]
	ds_read_b128 v[90:93], v25 offset:16896
	v_dot4c_i32_i8_e32 v27, v98, v94
	v_dot4c_i32_i8_e32 v31, v98, v95
	;; [unrolled: 1-line block ×16, first 2 shown]
	ds_read_b128 v[94:97], v25 offset:17152
	ds_read_b128 v[98:101], v23 offset:768
	s_waitcnt lgkmcnt(2)
	v_dot4c_i32_i8_e32 v81, v86, v90
	v_dot4c_i32_i8_e32 v83, v86, v91
	v_dot4c_i32_i8_e32 v82, v86, v92
	v_dot4c_i32_i8_e32 v80, v86, v93
	v_dot4c_i32_i8_e32 v71, v87, v90
	v_dot4c_i32_i8_e32 v74, v87, v91
	v_dot4c_i32_i8_e32 v70, v87, v92
	v_dot4c_i32_i8_e32 v68, v87, v93
	v_dot4c_i32_i8_e32 v66, v88, v90
	v_dot4c_i32_i8_e32 v67, v88, v91
	v_dot4c_i32_i8_e32 v65, v88, v92
	v_dot4c_i32_i8_e32 v64, v88, v93
	v_dot4c_i32_i8_e32 v54, v89, v90
	v_dot4c_i32_i8_e32 v56, v89, v91
	v_dot4c_i32_i8_e32 v53, v89, v92
	v_dot4c_i32_i8_e32 v52, v89, v93
	s_waitcnt lgkmcnt(1)
	v_dot4c_i32_i8_e32 v78, v86, v94
	v_dot4c_i32_i8_e32 v79, v86, v95
	;; [unrolled: 1-line block ×16, first 2 shown]
	ds_read_b128 v[86:89], v23 offset:1024
	s_waitcnt lgkmcnt(1)
	v_dot4c_i32_i8_e32 v22, v98, v90
	v_dot4c_i32_i8_e32 v28, v98, v91
	;; [unrolled: 1-line block ×16, first 2 shown]
	ds_read_b128 v[90:93], v25 offset:17408
	v_dot4c_i32_i8_e32 v27, v98, v94
	v_dot4c_i32_i8_e32 v31, v98, v95
	;; [unrolled: 1-line block ×16, first 2 shown]
	ds_read_b128 v[94:97], v25 offset:17664
	ds_read_b128 v[98:101], v23 offset:1280
	s_waitcnt lgkmcnt(2)
	v_dot4c_i32_i8_e32 v81, v86, v90
	v_dot4c_i32_i8_e32 v83, v86, v91
	;; [unrolled: 1-line block ×16, first 2 shown]
	s_waitcnt lgkmcnt(1)
	v_dot4c_i32_i8_e32 v78, v86, v94
	v_dot4c_i32_i8_e32 v79, v86, v95
	;; [unrolled: 1-line block ×16, first 2 shown]
	ds_read_b128 v[86:89], v23 offset:1536
	s_waitcnt lgkmcnt(1)
	v_dot4c_i32_i8_e32 v22, v98, v90
	v_dot4c_i32_i8_e32 v28, v98, v91
	;; [unrolled: 1-line block ×16, first 2 shown]
	ds_read_b128 v[90:93], v25 offset:17920
	v_dot4c_i32_i8_e32 v27, v98, v94
	v_dot4c_i32_i8_e32 v31, v98, v95
	;; [unrolled: 1-line block ×16, first 2 shown]
	ds_read_b128 v[94:97], v25 offset:18176
	ds_read_b128 v[98:101], v23 offset:1792
	s_waitcnt lgkmcnt(2)
	v_dot4c_i32_i8_e32 v81, v86, v90
	v_dot4c_i32_i8_e32 v83, v86, v91
	;; [unrolled: 1-line block ×16, first 2 shown]
	s_waitcnt lgkmcnt(1)
	v_dot4c_i32_i8_e32 v78, v86, v94
	v_dot4c_i32_i8_e32 v79, v86, v95
	;; [unrolled: 1-line block ×16, first 2 shown]
	ds_read_b128 v[86:89], v23 offset:2048
	s_waitcnt lgkmcnt(1)
	v_dot4c_i32_i8_e32 v22, v98, v90
	v_dot4c_i32_i8_e32 v28, v98, v91
	;; [unrolled: 1-line block ×16, first 2 shown]
	ds_read_b128 v[90:93], v25 offset:18432
	v_dot4c_i32_i8_e32 v27, v98, v94
	v_dot4c_i32_i8_e32 v31, v98, v95
	;; [unrolled: 1-line block ×16, first 2 shown]
	ds_read_b128 v[94:97], v25 offset:18688
	ds_read_b128 v[98:101], v23 offset:2304
	s_waitcnt lgkmcnt(2)
	v_dot4c_i32_i8_e32 v81, v86, v90
	v_dot4c_i32_i8_e32 v83, v86, v91
	;; [unrolled: 1-line block ×16, first 2 shown]
	s_waitcnt lgkmcnt(1)
	v_dot4c_i32_i8_e32 v78, v86, v94
	v_dot4c_i32_i8_e32 v79, v86, v95
	;; [unrolled: 1-line block ×16, first 2 shown]
	ds_read_b128 v[86:89], v23 offset:2560
	s_waitcnt lgkmcnt(1)
	v_dot4c_i32_i8_e32 v22, v98, v90
	v_dot4c_i32_i8_e32 v28, v98, v91
	;; [unrolled: 1-line block ×16, first 2 shown]
	ds_read_b128 v[90:93], v25 offset:18944
	v_dot4c_i32_i8_e32 v27, v98, v94
	v_dot4c_i32_i8_e32 v31, v98, v95
	;; [unrolled: 1-line block ×16, first 2 shown]
	ds_read_b128 v[94:97], v25 offset:19200
	ds_read_b128 v[98:101], v23 offset:2816
	s_waitcnt lgkmcnt(2)
	v_dot4c_i32_i8_e32 v81, v86, v90
	v_dot4c_i32_i8_e32 v83, v86, v91
	;; [unrolled: 1-line block ×16, first 2 shown]
	s_waitcnt lgkmcnt(1)
	v_dot4c_i32_i8_e32 v78, v86, v94
	v_dot4c_i32_i8_e32 v79, v86, v95
	;; [unrolled: 1-line block ×16, first 2 shown]
	ds_read_b128 v[86:89], v23 offset:3072
	s_waitcnt lgkmcnt(1)
	v_dot4c_i32_i8_e32 v22, v98, v90
	v_dot4c_i32_i8_e32 v28, v98, v91
	v_dot4c_i32_i8_e32 v21, v98, v92
	v_dot4c_i32_i8_e32 v19, v98, v93
	v_dot4c_i32_i8_e32 v38, v99, v90
	v_dot4c_i32_i8_e32 v41, v99, v91
	v_dot4c_i32_i8_e32 v37, v99, v92
	v_dot4c_i32_i8_e32 v34, v99, v93
	v_dot4c_i32_i8_e32 v36, v100, v90
	v_dot4c_i32_i8_e32 v40, v100, v91
	v_dot4c_i32_i8_e32 v35, v100, v92
	v_dot4c_i32_i8_e32 v33, v100, v93
	v_dot4c_i32_i8_e32 v50, v101, v90
	v_dot4c_i32_i8_e32 v51, v101, v91
	v_dot4c_i32_i8_e32 v49, v101, v92
	v_dot4c_i32_i8_e32 v48, v101, v93
	ds_read_b128 v[90:93], v25 offset:19456
	v_dot4c_i32_i8_e32 v27, v98, v94
	v_dot4c_i32_i8_e32 v31, v98, v95
	;; [unrolled: 1-line block ×16, first 2 shown]
	ds_read_b128 v[94:97], v25 offset:19712
	ds_read_b128 v[98:101], v23 offset:3328
	s_waitcnt lgkmcnt(2)
	v_dot4c_i32_i8_e32 v81, v86, v90
	v_dot4c_i32_i8_e32 v83, v86, v91
	;; [unrolled: 1-line block ×16, first 2 shown]
	s_waitcnt lgkmcnt(1)
	v_dot4c_i32_i8_e32 v78, v86, v94
	v_dot4c_i32_i8_e32 v79, v86, v95
	;; [unrolled: 1-line block ×16, first 2 shown]
	ds_read_b128 v[86:89], v23 offset:3584
	s_waitcnt lgkmcnt(1)
	v_dot4c_i32_i8_e32 v22, v98, v90
	v_dot4c_i32_i8_e32 v28, v98, v91
	;; [unrolled: 1-line block ×16, first 2 shown]
	ds_read_b128 v[90:93], v25 offset:19968
	v_dot4c_i32_i8_e32 v27, v98, v94
	v_dot4c_i32_i8_e32 v31, v98, v95
	;; [unrolled: 1-line block ×16, first 2 shown]
	ds_read_b128 v[94:97], v25 offset:20224
	ds_read_b128 v[98:101], v23 offset:3840
	s_waitcnt lgkmcnt(2)
	v_dot4c_i32_i8_e32 v81, v86, v90
	v_dot4c_i32_i8_e32 v83, v86, v91
	;; [unrolled: 1-line block ×16, first 2 shown]
	s_waitcnt lgkmcnt(1)
	v_dot4c_i32_i8_e32 v78, v86, v94
	v_dot4c_i32_i8_e32 v79, v86, v95
	;; [unrolled: 1-line block ×16, first 2 shown]
	ds_read_b128 v[86:89], v23 offset:4096
	s_waitcnt lgkmcnt(1)
	v_dot4c_i32_i8_e32 v22, v98, v90
	v_dot4c_i32_i8_e32 v28, v98, v91
	;; [unrolled: 1-line block ×16, first 2 shown]
	ds_read_b128 v[90:93], v25 offset:20480
	v_dot4c_i32_i8_e32 v27, v98, v94
	v_dot4c_i32_i8_e32 v31, v98, v95
	;; [unrolled: 1-line block ×16, first 2 shown]
	ds_read_b128 v[94:97], v25 offset:20736
	ds_read_b128 v[98:101], v23 offset:4352
	s_waitcnt lgkmcnt(2)
	v_dot4c_i32_i8_e32 v81, v86, v90
	v_dot4c_i32_i8_e32 v83, v86, v91
	;; [unrolled: 1-line block ×16, first 2 shown]
	s_waitcnt lgkmcnt(1)
	v_dot4c_i32_i8_e32 v78, v86, v94
	v_dot4c_i32_i8_e32 v79, v86, v95
	v_dot4c_i32_i8_e32 v77, v86, v96
	v_dot4c_i32_i8_e32 v76, v86, v97
	v_dot4c_i32_i8_e32 v73, v87, v94
	v_dot4c_i32_i8_e32 v75, v87, v95
	v_dot4c_i32_i8_e32 v72, v87, v96
	v_dot4c_i32_i8_e32 v69, v87, v97
	v_dot4c_i32_i8_e32 v62, v88, v94
	v_dot4c_i32_i8_e32 v63, v88, v95
	v_dot4c_i32_i8_e32 v61, v88, v96
	v_dot4c_i32_i8_e32 v60, v88, v97
	v_dot4c_i32_i8_e32 v58, v89, v94
	v_dot4c_i32_i8_e32 v59, v89, v95
	v_dot4c_i32_i8_e32 v57, v89, v96
	v_dot4c_i32_i8_e32 v55, v89, v97
	ds_read_b128 v[86:89], v23 offset:4608
	s_waitcnt lgkmcnt(1)
	v_dot4c_i32_i8_e32 v22, v98, v90
	v_dot4c_i32_i8_e32 v28, v98, v91
	;; [unrolled: 1-line block ×16, first 2 shown]
	ds_read_b128 v[90:93], v25 offset:20992
	v_dot4c_i32_i8_e32 v27, v98, v94
	v_dot4c_i32_i8_e32 v31, v98, v95
	;; [unrolled: 1-line block ×16, first 2 shown]
	ds_read_b128 v[94:97], v25 offset:21248
	ds_read_b128 v[98:101], v23 offset:4864
	s_waitcnt lgkmcnt(2)
	v_dot4c_i32_i8_e32 v81, v86, v90
	v_dot4c_i32_i8_e32 v83, v86, v91
	;; [unrolled: 1-line block ×16, first 2 shown]
	s_waitcnt lgkmcnt(1)
	v_dot4c_i32_i8_e32 v78, v86, v94
	v_dot4c_i32_i8_e32 v79, v86, v95
	;; [unrolled: 1-line block ×16, first 2 shown]
	ds_read_b128 v[86:89], v23 offset:5120
	s_waitcnt lgkmcnt(1)
	v_dot4c_i32_i8_e32 v22, v98, v90
	v_dot4c_i32_i8_e32 v28, v98, v91
	;; [unrolled: 1-line block ×16, first 2 shown]
	ds_read_b128 v[90:93], v25 offset:21504
	v_dot4c_i32_i8_e32 v27, v98, v94
	v_dot4c_i32_i8_e32 v31, v98, v95
	;; [unrolled: 1-line block ×16, first 2 shown]
	ds_read_b128 v[94:97], v25 offset:21760
	ds_read_b128 v[98:101], v23 offset:5376
	s_waitcnt lgkmcnt(2)
	v_dot4c_i32_i8_e32 v81, v86, v90
	v_dot4c_i32_i8_e32 v83, v86, v91
	;; [unrolled: 1-line block ×16, first 2 shown]
	s_waitcnt lgkmcnt(1)
	v_dot4c_i32_i8_e32 v78, v86, v94
	v_dot4c_i32_i8_e32 v79, v86, v95
	v_dot4c_i32_i8_e32 v77, v86, v96
	v_dot4c_i32_i8_e32 v76, v86, v97
	v_dot4c_i32_i8_e32 v73, v87, v94
	v_dot4c_i32_i8_e32 v75, v87, v95
	v_dot4c_i32_i8_e32 v72, v87, v96
	v_dot4c_i32_i8_e32 v69, v87, v97
	v_dot4c_i32_i8_e32 v62, v88, v94
	v_dot4c_i32_i8_e32 v63, v88, v95
	v_dot4c_i32_i8_e32 v61, v88, v96
	v_dot4c_i32_i8_e32 v60, v88, v97
	v_dot4c_i32_i8_e32 v58, v89, v94
	v_dot4c_i32_i8_e32 v59, v89, v95
	v_dot4c_i32_i8_e32 v57, v89, v96
	v_dot4c_i32_i8_e32 v55, v89, v97
	ds_read_b128 v[86:89], v23 offset:5632
	s_waitcnt lgkmcnt(1)
	v_dot4c_i32_i8_e32 v22, v98, v90
	v_dot4c_i32_i8_e32 v28, v98, v91
	;; [unrolled: 1-line block ×16, first 2 shown]
	ds_read_b128 v[90:93], v25 offset:22016
	v_dot4c_i32_i8_e32 v27, v98, v94
	v_dot4c_i32_i8_e32 v31, v98, v95
	;; [unrolled: 1-line block ×16, first 2 shown]
	ds_read_b128 v[94:97], v25 offset:22272
	ds_read_b128 v[98:101], v23 offset:5888
	s_waitcnt lgkmcnt(2)
	v_dot4c_i32_i8_e32 v81, v86, v90
	v_dot4c_i32_i8_e32 v83, v86, v91
	;; [unrolled: 1-line block ×16, first 2 shown]
	s_waitcnt lgkmcnt(1)
	v_dot4c_i32_i8_e32 v78, v86, v94
	v_dot4c_i32_i8_e32 v79, v86, v95
	;; [unrolled: 1-line block ×16, first 2 shown]
	ds_read_b128 v[86:89], v23 offset:6144
	s_waitcnt lgkmcnt(1)
	v_dot4c_i32_i8_e32 v22, v98, v90
	v_dot4c_i32_i8_e32 v28, v98, v91
	;; [unrolled: 1-line block ×16, first 2 shown]
	ds_read_b128 v[90:93], v25 offset:22528
	v_dot4c_i32_i8_e32 v27, v98, v94
	v_dot4c_i32_i8_e32 v31, v98, v95
	;; [unrolled: 1-line block ×16, first 2 shown]
	ds_read_b128 v[94:97], v25 offset:22784
	ds_read_b128 v[98:101], v23 offset:6400
	s_waitcnt lgkmcnt(2)
	v_dot4c_i32_i8_e32 v81, v86, v90
	v_dot4c_i32_i8_e32 v83, v86, v91
	;; [unrolled: 1-line block ×16, first 2 shown]
	s_waitcnt lgkmcnt(1)
	v_dot4c_i32_i8_e32 v78, v86, v94
	v_dot4c_i32_i8_e32 v79, v86, v95
	;; [unrolled: 1-line block ×16, first 2 shown]
	ds_read_b128 v[86:89], v23 offset:6656
	s_waitcnt lgkmcnt(1)
	v_dot4c_i32_i8_e32 v22, v98, v90
	v_dot4c_i32_i8_e32 v28, v98, v91
	;; [unrolled: 1-line block ×16, first 2 shown]
	ds_read_b128 v[90:93], v25 offset:23040
	v_dot4c_i32_i8_e32 v27, v98, v94
	v_dot4c_i32_i8_e32 v31, v98, v95
	;; [unrolled: 1-line block ×16, first 2 shown]
	ds_read_b128 v[94:97], v25 offset:23296
	ds_read_b128 v[98:101], v23 offset:6912
	s_waitcnt lgkmcnt(2)
	v_dot4c_i32_i8_e32 v81, v86, v90
	v_dot4c_i32_i8_e32 v83, v86, v91
	;; [unrolled: 1-line block ×16, first 2 shown]
	s_waitcnt lgkmcnt(1)
	v_dot4c_i32_i8_e32 v78, v86, v94
	v_dot4c_i32_i8_e32 v79, v86, v95
	;; [unrolled: 1-line block ×16, first 2 shown]
	ds_read_b128 v[86:89], v23 offset:7168
	s_waitcnt lgkmcnt(1)
	v_dot4c_i32_i8_e32 v22, v98, v90
	v_dot4c_i32_i8_e32 v28, v98, v91
	;; [unrolled: 1-line block ×16, first 2 shown]
	ds_read_b128 v[90:93], v25 offset:23552
	v_dot4c_i32_i8_e32 v27, v98, v94
	v_dot4c_i32_i8_e32 v31, v98, v95
	;; [unrolled: 1-line block ×16, first 2 shown]
	ds_read_b128 v[94:97], v25 offset:23808
	ds_read_b128 v[98:101], v23 offset:7424
	s_waitcnt lgkmcnt(2)
	v_dot4c_i32_i8_e32 v81, v86, v90
	v_dot4c_i32_i8_e32 v83, v86, v91
	;; [unrolled: 1-line block ×16, first 2 shown]
	s_waitcnt lgkmcnt(1)
	v_dot4c_i32_i8_e32 v78, v86, v94
	v_dot4c_i32_i8_e32 v79, v86, v95
	;; [unrolled: 1-line block ×16, first 2 shown]
	ds_read_b128 v[86:89], v23 offset:7680
	s_waitcnt lgkmcnt(1)
	v_dot4c_i32_i8_e32 v22, v98, v90
	v_dot4c_i32_i8_e32 v28, v98, v91
	;; [unrolled: 1-line block ×16, first 2 shown]
	ds_read_b128 v[90:93], v25 offset:24064
	v_dot4c_i32_i8_e32 v27, v98, v94
	v_dot4c_i32_i8_e32 v31, v98, v95
	;; [unrolled: 1-line block ×16, first 2 shown]
	ds_read_b128 v[94:97], v25 offset:24320
	ds_read_b128 v[98:101], v23 offset:7936
	s_waitcnt lgkmcnt(2)
	v_dot4c_i32_i8_e32 v81, v86, v90
	v_dot4c_i32_i8_e32 v83, v86, v91
	;; [unrolled: 1-line block ×4, first 2 shown]
	s_waitcnt lgkmcnt(1)
	v_dot4c_i32_i8_e32 v78, v86, v94
	v_dot4c_i32_i8_e32 v79, v86, v95
	;; [unrolled: 1-line block ×4, first 2 shown]
	s_waitcnt vmcnt(14)
	v_perm_b32 v85, v8, v9, s2
	s_waitcnt vmcnt(12)
	v_perm_b32 v86, v10, v11, s2
	v_dot4c_i32_i8_e32 v71, v87, v90
	v_dot4c_i32_i8_e32 v74, v87, v91
	;; [unrolled: 1-line block ×8, first 2 shown]
	v_lshl_or_b32 v86, v86, 16, v85
	v_perm_b32 v85, v8, v9, s4
	v_perm_b32 v87, v10, v11, s4
	s_mov_b32 s5, 0xc0c0206
	s_mov_b32 s6, 0xc0c0307
	v_lshl_or_b32 v87, v87, 16, v85
	v_perm_b32 v85, v8, v9, s5
	v_perm_b32 v8, v8, v9, s6
	;; [unrolled: 1-line block ×3, first 2 shown]
	v_dot4c_i32_i8_e32 v54, v89, v90
	v_dot4c_i32_i8_e32 v56, v89, v91
	;; [unrolled: 1-line block ×8, first 2 shown]
	v_lshl_or_b32 v89, v9, 16, v8
	s_waitcnt vmcnt(8)
	v_perm_b32 v8, v3, v2, s2
	v_perm_b32 v9, v1, v0, s2
	v_dot4c_i32_i8_e32 v66, v88, v90
	v_dot4c_i32_i8_e32 v67, v88, v91
	;; [unrolled: 1-line block ×8, first 2 shown]
	v_perm_b32 v88, v10, v11, s5
	v_lshl_or_b32 v8, v9, 16, v8
	v_perm_b32 v9, v3, v2, s4
	v_perm_b32 v10, v1, v0, s4
	v_lshl_or_b32 v9, v10, 16, v9
	v_perm_b32 v10, v3, v2, s5
	v_perm_b32 v11, v1, v0, s5
	v_perm_b32 v2, v3, v2, s6
	v_perm_b32 v0, v1, v0, s6
	v_lshl_or_b32 v10, v11, 16, v10
	v_lshl_or_b32 v11, v0, 16, v2
	s_waitcnt vmcnt(6)
	v_perm_b32 v0, v12, v13, s2
	s_waitcnt vmcnt(4)
	v_perm_b32 v1, v14, v15, s2
	v_lshl_or_b32 v0, v1, 16, v0
	v_perm_b32 v1, v12, v13, s4
	v_perm_b32 v2, v14, v15, s4
	v_lshl_or_b32 v1, v2, 16, v1
	v_perm_b32 v2, v12, v13, s5
	v_perm_b32 v3, v14, v15, s5
	ds_write_b128 v84, v[8:11] offset:8704
	v_lshl_or_b32 v2, v3, 16, v2
	v_perm_b32 v3, v12, v13, s6
	v_perm_b32 v8, v14, v15, s6
	v_lshl_or_b32 v3, v8, 16, v3
	ds_write_b128 v84, v[0:3] offset:24576
	s_waitcnt vmcnt(0)
	v_perm_b32 v0, v7, v6, s2
	v_perm_b32 v1, v5, v4, s2
	v_lshl_or_b32 v0, v1, 16, v0
	v_perm_b32 v1, v7, v6, s4
	v_perm_b32 v2, v5, v4, s4
	v_lshl_or_b32 v1, v2, 16, v1
	;; [unrolled: 3-line block ×4, first 2 shown]
	v_lshl_or_b32 v3, v4, 16, v3
	ds_write_b128 v84, v[86:89] offset:8192
	ds_write_b128 v84, v[0:3] offset:25088
	s_waitcnt lgkmcnt(0)
	s_barrier
	ds_read_b128 v[0:3], v23 offset:8192
	ds_read_b128 v[4:7], v25 offset:24576
	;; [unrolled: 1-line block ×4, first 2 shown]
	v_dot4c_i32_i8_e32 v22, v98, v90
	v_dot4c_i32_i8_e32 v28, v98, v91
	;; [unrolled: 1-line block ×32, first 2 shown]
	s_waitcnt lgkmcnt(2)
	v_dot4c_i32_i8_e32 v81, v0, v4
	v_dot4c_i32_i8_e32 v83, v0, v5
	;; [unrolled: 1-line block ×16, first 2 shown]
	s_waitcnt lgkmcnt(1)
	v_dot4c_i32_i8_e32 v78, v0, v8
	v_dot4c_i32_i8_e32 v79, v0, v9
	;; [unrolled: 1-line block ×16, first 2 shown]
	ds_read_b128 v[0:3], v23 offset:8704
	s_waitcnt lgkmcnt(1)
	v_dot4c_i32_i8_e32 v22, v12, v4
	v_dot4c_i32_i8_e32 v28, v12, v5
	;; [unrolled: 1-line block ×16, first 2 shown]
	ds_read_b128 v[4:7], v25 offset:25088
	v_dot4c_i32_i8_e32 v27, v12, v8
	v_dot4c_i32_i8_e32 v31, v12, v9
	;; [unrolled: 1-line block ×16, first 2 shown]
	ds_read_b128 v[8:11], v25 offset:25344
	ds_read_b128 v[12:15], v23 offset:8960
	s_waitcnt lgkmcnt(2)
	v_dot4c_i32_i8_e32 v81, v0, v4
	v_dot4c_i32_i8_e32 v83, v0, v5
	;; [unrolled: 1-line block ×16, first 2 shown]
	s_waitcnt lgkmcnt(1)
	v_dot4c_i32_i8_e32 v78, v0, v8
	v_dot4c_i32_i8_e32 v79, v0, v9
	;; [unrolled: 1-line block ×16, first 2 shown]
	ds_read_b128 v[0:3], v23 offset:9216
	s_waitcnt lgkmcnt(1)
	v_dot4c_i32_i8_e32 v22, v12, v4
	v_dot4c_i32_i8_e32 v28, v12, v5
	v_dot4c_i32_i8_e32 v21, v12, v6
	v_dot4c_i32_i8_e32 v19, v12, v7
	v_dot4c_i32_i8_e32 v38, v13, v4
	v_dot4c_i32_i8_e32 v41, v13, v5
	v_dot4c_i32_i8_e32 v37, v13, v6
	v_dot4c_i32_i8_e32 v34, v13, v7
	v_dot4c_i32_i8_e32 v36, v14, v4
	v_dot4c_i32_i8_e32 v40, v14, v5
	v_dot4c_i32_i8_e32 v35, v14, v6
	v_dot4c_i32_i8_e32 v33, v14, v7
	v_dot4c_i32_i8_e32 v50, v15, v4
	v_dot4c_i32_i8_e32 v51, v15, v5
	v_dot4c_i32_i8_e32 v49, v15, v6
	v_dot4c_i32_i8_e32 v48, v15, v7
	ds_read_b128 v[4:7], v25 offset:25600
	v_dot4c_i32_i8_e32 v27, v12, v8
	v_dot4c_i32_i8_e32 v31, v12, v9
	;; [unrolled: 1-line block ×16, first 2 shown]
	ds_read_b128 v[8:11], v25 offset:25856
	ds_read_b128 v[12:15], v23 offset:9472
	s_waitcnt lgkmcnt(2)
	v_dot4c_i32_i8_e32 v81, v0, v4
	v_dot4c_i32_i8_e32 v83, v0, v5
	;; [unrolled: 1-line block ×16, first 2 shown]
	s_waitcnt lgkmcnt(1)
	v_dot4c_i32_i8_e32 v78, v0, v8
	v_dot4c_i32_i8_e32 v79, v0, v9
	;; [unrolled: 1-line block ×16, first 2 shown]
	ds_read_b128 v[0:3], v23 offset:9728
	s_waitcnt lgkmcnt(1)
	v_dot4c_i32_i8_e32 v22, v12, v4
	v_dot4c_i32_i8_e32 v28, v12, v5
	;; [unrolled: 1-line block ×16, first 2 shown]
	ds_read_b128 v[4:7], v25 offset:26112
	v_dot4c_i32_i8_e32 v27, v12, v8
	v_dot4c_i32_i8_e32 v31, v12, v9
	;; [unrolled: 1-line block ×16, first 2 shown]
	ds_read_b128 v[8:11], v25 offset:26368
	ds_read_b128 v[12:15], v23 offset:9984
	s_waitcnt lgkmcnt(2)
	v_dot4c_i32_i8_e32 v81, v0, v4
	v_dot4c_i32_i8_e32 v83, v0, v5
	;; [unrolled: 1-line block ×16, first 2 shown]
	s_waitcnt lgkmcnt(1)
	v_dot4c_i32_i8_e32 v78, v0, v8
	v_dot4c_i32_i8_e32 v79, v0, v9
	;; [unrolled: 1-line block ×16, first 2 shown]
	ds_read_b128 v[0:3], v23 offset:10240
	s_waitcnt lgkmcnt(1)
	v_dot4c_i32_i8_e32 v22, v12, v4
	v_dot4c_i32_i8_e32 v28, v12, v5
	v_dot4c_i32_i8_e32 v21, v12, v6
	v_dot4c_i32_i8_e32 v19, v12, v7
	v_dot4c_i32_i8_e32 v38, v13, v4
	v_dot4c_i32_i8_e32 v41, v13, v5
	v_dot4c_i32_i8_e32 v37, v13, v6
	v_dot4c_i32_i8_e32 v34, v13, v7
	v_dot4c_i32_i8_e32 v36, v14, v4
	v_dot4c_i32_i8_e32 v40, v14, v5
	v_dot4c_i32_i8_e32 v35, v14, v6
	v_dot4c_i32_i8_e32 v33, v14, v7
	v_dot4c_i32_i8_e32 v50, v15, v4
	v_dot4c_i32_i8_e32 v51, v15, v5
	v_dot4c_i32_i8_e32 v49, v15, v6
	v_dot4c_i32_i8_e32 v48, v15, v7
	ds_read_b128 v[4:7], v25 offset:26624
	v_dot4c_i32_i8_e32 v27, v12, v8
	v_dot4c_i32_i8_e32 v31, v12, v9
	;; [unrolled: 1-line block ×16, first 2 shown]
	ds_read_b128 v[8:11], v25 offset:26880
	ds_read_b128 v[12:15], v23 offset:10496
	s_waitcnt lgkmcnt(2)
	v_dot4c_i32_i8_e32 v81, v0, v4
	v_dot4c_i32_i8_e32 v83, v0, v5
	;; [unrolled: 1-line block ×16, first 2 shown]
	s_waitcnt lgkmcnt(1)
	v_dot4c_i32_i8_e32 v78, v0, v8
	v_dot4c_i32_i8_e32 v79, v0, v9
	;; [unrolled: 1-line block ×16, first 2 shown]
	ds_read_b128 v[0:3], v23 offset:10752
	s_waitcnt lgkmcnt(1)
	v_dot4c_i32_i8_e32 v22, v12, v4
	v_dot4c_i32_i8_e32 v28, v12, v5
	;; [unrolled: 1-line block ×16, first 2 shown]
	ds_read_b128 v[4:7], v25 offset:27136
	v_dot4c_i32_i8_e32 v27, v12, v8
	v_dot4c_i32_i8_e32 v31, v12, v9
	;; [unrolled: 1-line block ×16, first 2 shown]
	ds_read_b128 v[8:11], v25 offset:27392
	ds_read_b128 v[12:15], v23 offset:11008
	s_waitcnt lgkmcnt(2)
	v_dot4c_i32_i8_e32 v81, v0, v4
	v_dot4c_i32_i8_e32 v83, v0, v5
	;; [unrolled: 1-line block ×16, first 2 shown]
	s_waitcnt lgkmcnt(1)
	v_dot4c_i32_i8_e32 v78, v0, v8
	v_dot4c_i32_i8_e32 v79, v0, v9
	;; [unrolled: 1-line block ×16, first 2 shown]
	ds_read_b128 v[0:3], v23 offset:11264
	s_waitcnt lgkmcnt(1)
	v_dot4c_i32_i8_e32 v22, v12, v4
	v_dot4c_i32_i8_e32 v28, v12, v5
	;; [unrolled: 1-line block ×16, first 2 shown]
	ds_read_b128 v[4:7], v25 offset:27648
	v_dot4c_i32_i8_e32 v27, v12, v8
	v_dot4c_i32_i8_e32 v31, v12, v9
	v_dot4c_i32_i8_e32 v26, v12, v10
	v_dot4c_i32_i8_e32 v20, v12, v11
	v_dot4c_i32_i8_e32 v30, v13, v8
	v_dot4c_i32_i8_e32 v32, v13, v9
	v_dot4c_i32_i8_e32 v29, v13, v10
	v_dot4c_i32_i8_e32 v24, v13, v11
	v_dot4c_i32_i8_e32 v45, v14, v8
	v_dot4c_i32_i8_e32 v47, v14, v9
	v_dot4c_i32_i8_e32 v44, v14, v10
	v_dot4c_i32_i8_e32 v39, v14, v11
	v_dot4c_i32_i8_e32 v43, v15, v8
	v_dot4c_i32_i8_e32 v46, v15, v9
	v_dot4c_i32_i8_e32 v42, v15, v10
	v_dot4c_i32_i8_e32 v18, v15, v11
	ds_read_b128 v[8:11], v25 offset:27904
	ds_read_b128 v[12:15], v23 offset:11520
	s_waitcnt lgkmcnt(2)
	v_dot4c_i32_i8_e32 v81, v0, v4
	v_dot4c_i32_i8_e32 v83, v0, v5
	;; [unrolled: 1-line block ×16, first 2 shown]
	s_waitcnt lgkmcnt(1)
	v_dot4c_i32_i8_e32 v78, v0, v8
	v_dot4c_i32_i8_e32 v79, v0, v9
	;; [unrolled: 1-line block ×16, first 2 shown]
	ds_read_b128 v[0:3], v23 offset:11776
	s_waitcnt lgkmcnt(1)
	v_dot4c_i32_i8_e32 v22, v12, v4
	v_dot4c_i32_i8_e32 v28, v12, v5
	;; [unrolled: 1-line block ×16, first 2 shown]
	ds_read_b128 v[4:7], v25 offset:28160
	v_dot4c_i32_i8_e32 v27, v12, v8
	v_dot4c_i32_i8_e32 v31, v12, v9
	;; [unrolled: 1-line block ×16, first 2 shown]
	ds_read_b128 v[8:11], v25 offset:28416
	ds_read_b128 v[12:15], v23 offset:12032
	s_waitcnt lgkmcnt(2)
	v_dot4c_i32_i8_e32 v81, v0, v4
	v_dot4c_i32_i8_e32 v83, v0, v5
	;; [unrolled: 1-line block ×16, first 2 shown]
	s_waitcnt lgkmcnt(1)
	v_dot4c_i32_i8_e32 v78, v0, v8
	v_dot4c_i32_i8_e32 v79, v0, v9
	;; [unrolled: 1-line block ×16, first 2 shown]
	ds_read_b128 v[0:3], v23 offset:12288
	s_waitcnt lgkmcnt(1)
	v_dot4c_i32_i8_e32 v22, v12, v4
	v_dot4c_i32_i8_e32 v28, v12, v5
	;; [unrolled: 1-line block ×16, first 2 shown]
	ds_read_b128 v[4:7], v25 offset:28672
	v_dot4c_i32_i8_e32 v27, v12, v8
	v_dot4c_i32_i8_e32 v31, v12, v9
	;; [unrolled: 1-line block ×16, first 2 shown]
	ds_read_b128 v[8:11], v25 offset:28928
	ds_read_b128 v[12:15], v23 offset:12544
	s_waitcnt lgkmcnt(2)
	v_dot4c_i32_i8_e32 v81, v0, v4
	v_dot4c_i32_i8_e32 v83, v0, v5
	;; [unrolled: 1-line block ×16, first 2 shown]
	s_waitcnt lgkmcnt(1)
	v_dot4c_i32_i8_e32 v78, v0, v8
	v_dot4c_i32_i8_e32 v79, v0, v9
	;; [unrolled: 1-line block ×16, first 2 shown]
	ds_read_b128 v[0:3], v23 offset:12800
	s_waitcnt lgkmcnt(1)
	v_dot4c_i32_i8_e32 v22, v12, v4
	v_dot4c_i32_i8_e32 v28, v12, v5
	;; [unrolled: 1-line block ×16, first 2 shown]
	ds_read_b128 v[4:7], v25 offset:29184
	v_dot4c_i32_i8_e32 v27, v12, v8
	v_dot4c_i32_i8_e32 v31, v12, v9
	;; [unrolled: 1-line block ×16, first 2 shown]
	ds_read_b128 v[8:11], v25 offset:29440
	ds_read_b128 v[12:15], v23 offset:13056
	s_waitcnt lgkmcnt(2)
	v_dot4c_i32_i8_e32 v81, v0, v4
	v_dot4c_i32_i8_e32 v83, v0, v5
	v_dot4c_i32_i8_e32 v82, v0, v6
	v_dot4c_i32_i8_e32 v80, v0, v7
	v_dot4c_i32_i8_e32 v71, v1, v4
	v_dot4c_i32_i8_e32 v74, v1, v5
	v_dot4c_i32_i8_e32 v70, v1, v6
	v_dot4c_i32_i8_e32 v68, v1, v7
	v_dot4c_i32_i8_e32 v66, v2, v4
	v_dot4c_i32_i8_e32 v67, v2, v5
	v_dot4c_i32_i8_e32 v65, v2, v6
	v_dot4c_i32_i8_e32 v64, v2, v7
	v_dot4c_i32_i8_e32 v54, v3, v4
	v_dot4c_i32_i8_e32 v56, v3, v5
	v_dot4c_i32_i8_e32 v53, v3, v6
	v_dot4c_i32_i8_e32 v52, v3, v7
	s_waitcnt lgkmcnt(1)
	v_dot4c_i32_i8_e32 v78, v0, v8
	v_dot4c_i32_i8_e32 v79, v0, v9
	;; [unrolled: 1-line block ×16, first 2 shown]
	ds_read_b128 v[0:3], v23 offset:13312
	s_waitcnt lgkmcnt(1)
	v_dot4c_i32_i8_e32 v22, v12, v4
	v_dot4c_i32_i8_e32 v28, v12, v5
	;; [unrolled: 1-line block ×16, first 2 shown]
	ds_read_b128 v[4:7], v25 offset:29696
	v_dot4c_i32_i8_e32 v27, v12, v8
	v_dot4c_i32_i8_e32 v31, v12, v9
	;; [unrolled: 1-line block ×16, first 2 shown]
	ds_read_b128 v[8:11], v25 offset:29952
	ds_read_b128 v[12:15], v23 offset:13568
	s_waitcnt lgkmcnt(2)
	v_dot4c_i32_i8_e32 v81, v0, v4
	v_dot4c_i32_i8_e32 v83, v0, v5
	;; [unrolled: 1-line block ×16, first 2 shown]
	s_waitcnt lgkmcnt(1)
	v_dot4c_i32_i8_e32 v78, v0, v8
	v_dot4c_i32_i8_e32 v79, v0, v9
	;; [unrolled: 1-line block ×16, first 2 shown]
	ds_read_b128 v[0:3], v23 offset:13824
	s_waitcnt lgkmcnt(1)
	v_dot4c_i32_i8_e32 v22, v12, v4
	v_dot4c_i32_i8_e32 v28, v12, v5
	;; [unrolled: 1-line block ×16, first 2 shown]
	ds_read_b128 v[4:7], v25 offset:30208
	v_dot4c_i32_i8_e32 v27, v12, v8
	v_dot4c_i32_i8_e32 v31, v12, v9
	;; [unrolled: 1-line block ×16, first 2 shown]
	ds_read_b128 v[8:11], v25 offset:30464
	ds_read_b128 v[12:15], v23 offset:14080
	s_waitcnt lgkmcnt(2)
	v_dot4c_i32_i8_e32 v81, v0, v4
	v_dot4c_i32_i8_e32 v83, v0, v5
	;; [unrolled: 1-line block ×16, first 2 shown]
	s_waitcnt lgkmcnt(1)
	v_dot4c_i32_i8_e32 v78, v0, v8
	v_dot4c_i32_i8_e32 v79, v0, v9
	;; [unrolled: 1-line block ×16, first 2 shown]
	ds_read_b128 v[0:3], v23 offset:14336
	s_waitcnt lgkmcnt(1)
	v_dot4c_i32_i8_e32 v22, v12, v4
	v_dot4c_i32_i8_e32 v28, v12, v5
	;; [unrolled: 1-line block ×16, first 2 shown]
	ds_read_b128 v[4:7], v25 offset:30720
	v_dot4c_i32_i8_e32 v27, v12, v8
	v_dot4c_i32_i8_e32 v31, v12, v9
	v_dot4c_i32_i8_e32 v26, v12, v10
	v_dot4c_i32_i8_e32 v20, v12, v11
	v_dot4c_i32_i8_e32 v30, v13, v8
	v_dot4c_i32_i8_e32 v32, v13, v9
	v_dot4c_i32_i8_e32 v29, v13, v10
	v_dot4c_i32_i8_e32 v24, v13, v11
	v_dot4c_i32_i8_e32 v45, v14, v8
	v_dot4c_i32_i8_e32 v47, v14, v9
	v_dot4c_i32_i8_e32 v44, v14, v10
	v_dot4c_i32_i8_e32 v39, v14, v11
	v_dot4c_i32_i8_e32 v43, v15, v8
	v_dot4c_i32_i8_e32 v46, v15, v9
	v_dot4c_i32_i8_e32 v42, v15, v10
	v_dot4c_i32_i8_e32 v18, v15, v11
	ds_read_b128 v[8:11], v25 offset:30976
	ds_read_b128 v[12:15], v23 offset:14592
	s_waitcnt lgkmcnt(2)
	v_dot4c_i32_i8_e32 v81, v0, v4
	v_dot4c_i32_i8_e32 v83, v0, v5
	;; [unrolled: 1-line block ×16, first 2 shown]
	s_waitcnt lgkmcnt(1)
	v_dot4c_i32_i8_e32 v78, v0, v8
	v_dot4c_i32_i8_e32 v79, v0, v9
	;; [unrolled: 1-line block ×16, first 2 shown]
	ds_read_b128 v[0:3], v23 offset:14848
	s_waitcnt lgkmcnt(1)
	v_dot4c_i32_i8_e32 v22, v12, v4
	v_dot4c_i32_i8_e32 v28, v12, v5
	;; [unrolled: 1-line block ×16, first 2 shown]
	ds_read_b128 v[4:7], v25 offset:31232
	v_dot4c_i32_i8_e32 v27, v12, v8
	v_dot4c_i32_i8_e32 v31, v12, v9
	;; [unrolled: 1-line block ×16, first 2 shown]
	ds_read_b128 v[8:11], v25 offset:31488
	ds_read_b128 v[12:15], v23 offset:15104
	s_waitcnt lgkmcnt(2)
	v_dot4c_i32_i8_e32 v81, v0, v4
	v_dot4c_i32_i8_e32 v83, v0, v5
	;; [unrolled: 1-line block ×16, first 2 shown]
	s_waitcnt lgkmcnt(1)
	v_dot4c_i32_i8_e32 v78, v0, v8
	v_dot4c_i32_i8_e32 v79, v0, v9
	;; [unrolled: 1-line block ×16, first 2 shown]
	ds_read_b128 v[0:3], v23 offset:15360
	s_waitcnt lgkmcnt(1)
	v_dot4c_i32_i8_e32 v22, v12, v4
	v_dot4c_i32_i8_e32 v28, v12, v5
	;; [unrolled: 1-line block ×16, first 2 shown]
	ds_read_b128 v[4:7], v25 offset:31744
	v_dot4c_i32_i8_e32 v27, v12, v8
	v_dot4c_i32_i8_e32 v31, v12, v9
	v_dot4c_i32_i8_e32 v26, v12, v10
	v_dot4c_i32_i8_e32 v20, v12, v11
	v_dot4c_i32_i8_e32 v30, v13, v8
	v_dot4c_i32_i8_e32 v32, v13, v9
	v_dot4c_i32_i8_e32 v29, v13, v10
	v_dot4c_i32_i8_e32 v24, v13, v11
	v_dot4c_i32_i8_e32 v45, v14, v8
	v_dot4c_i32_i8_e32 v47, v14, v9
	v_dot4c_i32_i8_e32 v44, v14, v10
	v_dot4c_i32_i8_e32 v39, v14, v11
	v_dot4c_i32_i8_e32 v43, v15, v8
	v_dot4c_i32_i8_e32 v46, v15, v9
	v_dot4c_i32_i8_e32 v42, v15, v10
	v_dot4c_i32_i8_e32 v18, v15, v11
	ds_read_b128 v[8:11], v25 offset:32000
	ds_read_b128 v[12:15], v23 offset:15616
	s_waitcnt lgkmcnt(2)
	v_dot4c_i32_i8_e32 v81, v0, v4
	v_dot4c_i32_i8_e32 v83, v0, v5
	;; [unrolled: 1-line block ×16, first 2 shown]
	s_waitcnt lgkmcnt(1)
	v_dot4c_i32_i8_e32 v78, v0, v8
	v_dot4c_i32_i8_e32 v79, v0, v9
	;; [unrolled: 1-line block ×16, first 2 shown]
	ds_read_b128 v[0:3], v23 offset:15872
	s_waitcnt lgkmcnt(1)
	v_dot4c_i32_i8_e32 v22, v12, v4
	v_dot4c_i32_i8_e32 v28, v12, v5
	;; [unrolled: 1-line block ×16, first 2 shown]
	ds_read_b128 v[4:7], v25 offset:32256
	v_dot4c_i32_i8_e32 v27, v12, v8
	v_dot4c_i32_i8_e32 v31, v12, v9
	;; [unrolled: 1-line block ×16, first 2 shown]
	ds_read_b128 v[8:11], v25 offset:32512
	ds_read_b128 v[12:15], v23 offset:16128
	s_waitcnt lgkmcnt(2)
	v_dot4c_i32_i8_e32 v83, v0, v5
	v_dot4c_i32_i8_e32 v82, v0, v6
	;; [unrolled: 1-line block ×12, first 2 shown]
	s_waitcnt lgkmcnt(1)
	v_dot4c_i32_i8_e32 v78, v0, v8
	v_dot4c_i32_i8_e32 v79, v0, v9
	;; [unrolled: 1-line block ×12, first 2 shown]
	v_add_u32_e32 v0, s0, v17
	v_lshlrev_b32_e32 v1, 8, v83
	v_lshlrev_b32_e32 v2, 16, v82
	s_mov_b32 s0, 0x40c0c00
	v_dot4c_i32_i8_e32 v54, v3, v4
	v_dot4c_i32_i8_e32 v56, v3, v5
	;; [unrolled: 1-line block ×8, first 2 shown]
	v_mul_lo_u32 v0, v0, s3
	v_and_b32_e32 v1, 0xff00, v1
	v_and_b32_e32 v2, 0xff0000, v2
	v_perm_b32 v3, v80, v81, s0
	v_add3_u32 v0, s1, v16, v0
	v_or3_b32 v1, v3, v1, v2
	s_and_b32 s13, s13, 0xffff
	s_mov_b32 s15, 0x20000
	buffer_store_dword v1, v0, s[12:15], 0 offen
	v_lshlrev_b32_e32 v1, 8, v79
	v_lshlrev_b32_e32 v2, 16, v77
	v_and_b32_e32 v1, 0xff00, v1
	v_and_b32_e32 v2, 0xff0000, v2
	v_perm_b32 v3, v76, v78, s0
	v_or3_b32 v1, v3, v1, v2
	v_lshlrev_b32_e32 v2, 8, v75
	v_lshlrev_b32_e32 v3, 16, v72
	s_waitcnt lgkmcnt(0)
	v_dot4c_i32_i8_e32 v22, v12, v4
	v_dot4c_i32_i8_e32 v38, v13, v4
	;; [unrolled: 1-line block ×4, first 2 shown]
	buffer_store_dword v1, v0, s[12:15], 0 offen offset:64
	v_add_u32_e32 v0, s3, v0
	v_and_b32_e32 v2, 0xff00, v2
	v_and_b32_e32 v3, 0xff0000, v3
	v_perm_b32 v4, v69, v73, s0
	v_add_u32_e32 v1, 64, v0
	v_or3_b32 v2, v4, v2, v3
	buffer_store_dword v2, v1, s[12:15], 0 offen
	v_lshlrev_b32_e32 v1, 8, v74
	v_lshlrev_b32_e32 v2, 16, v70
	v_and_b32_e32 v1, 0xff00, v1
	v_and_b32_e32 v2, 0xff0000, v2
	v_perm_b32 v3, v68, v71, s0
	v_or3_b32 v1, v3, v1, v2
	buffer_store_dword v1, v0, s[12:15], 0 offen
	v_lshlrev_b32_e32 v1, 8, v67
	v_lshlrev_b32_e32 v2, 16, v65
	v_and_b32_e32 v1, 0xff00, v1
	v_and_b32_e32 v2, 0xff0000, v2
	v_perm_b32 v3, v64, v66, s0
	v_or3_b32 v1, v3, v1, v2
	v_lshlrev_b32_e32 v2, 8, v63
	v_lshlrev_b32_e32 v3, 16, v61
	v_and_b32_e32 v2, 0xff00, v2
	v_and_b32_e32 v3, 0xff0000, v3
	v_perm_b32 v4, v60, v62, s0
	v_add_u32_e32 v0, s3, v0
	v_or3_b32 v2, v4, v2, v3
	v_lshlrev_b32_e32 v3, 8, v59
	v_lshlrev_b32_e32 v4, 16, v57
	v_dot4c_i32_i8_e32 v28, v12, v5
	v_dot4c_i32_i8_e32 v41, v13, v5
	v_dot4c_i32_i8_e32 v40, v14, v5
	v_dot4c_i32_i8_e32 v51, v15, v5
	buffer_store_dword v1, v0, s[12:15], 0 offen
	v_add_u32_e32 v1, 64, v0
	v_and_b32_e32 v3, 0xff00, v3
	v_and_b32_e32 v4, 0xff0000, v4
	v_perm_b32 v5, v55, v58, s0
	buffer_store_dword v2, v0, s[12:15], 0 offen offset:64
	v_add_u32_e32 v2, s3, v1
	v_or3_b32 v3, v5, v3, v4
	buffer_store_dword v3, v2, s[12:15], 0 offen
	v_lshlrev_b32_e32 v2, 8, v56
	v_lshlrev_b32_e32 v3, 16, v53
	v_and_b32_e32 v2, 0xff00, v2
	v_and_b32_e32 v3, 0xff0000, v3
	v_perm_b32 v4, v52, v54, s0
	v_dot4c_i32_i8_e32 v49, v15, v6
	v_add_u32_e32 v0, s3, v0
	v_or3_b32 v2, v4, v2, v3
	v_dot4c_i32_i8_e32 v48, v15, v7
	buffer_store_dword v2, v0, s[12:15], 0 offen
	v_lshlrev_b32_e32 v2, 8, v51
	v_lshlrev_b32_e32 v3, 16, v49
	s_lshl_b32 s1, s3, 6
	v_and_b32_e32 v2, 0xff00, v2
	v_and_b32_e32 v3, 0xff0000, v3
	v_perm_b32 v4, v48, v50, s0
	v_dot4c_i32_i8_e32 v46, v15, v9
	v_dot4c_i32_i8_e32 v42, v15, v10
	v_add_u32_e32 v0, s1, v0
	v_or3_b32 v2, v4, v2, v3
	v_dot4c_i32_i8_e32 v43, v15, v8
	v_dot4c_i32_i8_e32 v18, v15, v11
	buffer_store_dword v2, v0, s[12:15], 0 offen
	v_lshlrev_b32_e32 v2, 8, v46
	v_lshlrev_b32_e32 v3, 16, v42
	v_and_b32_e32 v2, 0xff00, v2
	v_and_b32_e32 v3, 0xff0000, v3
	v_perm_b32 v4, v18, v43, s0
	v_dot4c_i32_i8_e32 v47, v14, v9
	v_dot4c_i32_i8_e32 v44, v14, v10
	v_or3_b32 v2, v4, v2, v3
	v_dot4c_i32_i8_e32 v45, v14, v8
	v_dot4c_i32_i8_e32 v39, v14, v11
	buffer_store_dword v2, v0, s[12:15], 0 offen offset:64
	v_add_u32_e32 v0, s1, v1
	v_lshlrev_b32_e32 v1, 8, v47
	v_lshlrev_b32_e32 v2, 16, v44
	v_and_b32_e32 v1, 0xff00, v1
	v_and_b32_e32 v2, 0xff0000, v2
	v_perm_b32 v3, v39, v45, s0
	v_dot4c_i32_i8_e32 v35, v14, v6
	v_or3_b32 v1, v3, v1, v2
	v_dot4c_i32_i8_e32 v33, v14, v7
	buffer_store_dword v1, v0, s[12:15], 0 offen
	v_lshlrev_b32_e32 v1, 8, v40
	v_lshlrev_b32_e32 v2, 16, v35
	v_and_b32_e32 v1, 0xff00, v1
	v_and_b32_e32 v2, 0xff0000, v2
	v_perm_b32 v3, v33, v36, s0
	v_dot4c_i32_i8_e32 v37, v13, v6
	v_subrev_u32_e32 v0, 64, v0
	v_or3_b32 v1, v3, v1, v2
	v_dot4c_i32_i8_e32 v34, v13, v7
	buffer_store_dword v1, v0, s[12:15], 0 offen
	v_lshlrev_b32_e32 v1, 8, v41
	v_lshlrev_b32_e32 v2, 16, v37
	v_and_b32_e32 v1, 0xff00, v1
	v_and_b32_e32 v2, 0xff0000, v2
	v_perm_b32 v3, v34, v38, s0
	v_dot4c_i32_i8_e32 v32, v13, v9
	v_dot4c_i32_i8_e32 v29, v13, v10
	v_subrev_u32_e32 v0, s3, v0
	v_or3_b32 v1, v3, v1, v2
	v_dot4c_i32_i8_e32 v30, v13, v8
	v_dot4c_i32_i8_e32 v24, v13, v11
	buffer_store_dword v1, v0, s[12:15], 0 offen
	v_lshlrev_b32_e32 v1, 8, v32
	v_lshlrev_b32_e32 v2, 16, v29
	v_dot4c_i32_i8_e32 v31, v12, v9
	v_dot4c_i32_i8_e32 v26, v12, v10
	v_and_b32_e32 v1, 0xff00, v1
	v_and_b32_e32 v2, 0xff0000, v2
	v_perm_b32 v3, v24, v30, s0
	v_dot4c_i32_i8_e32 v27, v12, v8
	v_dot4c_i32_i8_e32 v20, v12, v11
	v_or3_b32 v1, v3, v1, v2
	v_lshlrev_b32_e32 v2, 8, v31
	v_lshlrev_b32_e32 v3, 16, v26
	buffer_store_dword v1, v0, s[12:15], 0 offen offset:64
	v_subrev_u32_e32 v0, s3, v0
	v_and_b32_e32 v2, 0xff00, v2
	v_and_b32_e32 v3, 0xff0000, v3
	v_perm_b32 v4, v20, v27, s0
	v_dot4c_i32_i8_e32 v21, v12, v6
	v_add_u32_e32 v1, 64, v0
	v_or3_b32 v2, v4, v2, v3
	v_dot4c_i32_i8_e32 v19, v12, v7
	buffer_store_dword v2, v1, s[12:15], 0 offen
	v_lshlrev_b32_e32 v1, 8, v28
	v_lshlrev_b32_e32 v2, 16, v21
	v_and_b32_e32 v1, 0xff00, v1
	v_and_b32_e32 v2, 0xff0000, v2
	v_perm_b32 v3, v19, v22, s0
	v_or3_b32 v1, v3, v1, v2
	buffer_store_dword v1, v0, s[12:15], 0 offen
	s_endpgm
	.section	.rodata,"a",@progbits
	.p2align	6, 0x0
	.amdhsa_kernel _ZN2ck19kernel_gemm_dl_v1r3INS_28GridwiseGemmDl_km_kn_mn_v1r3ILi256EaiaLNS_25InMemoryDataOperationEnumE0ENS_16TensorDescriptorINS_5TupleIJNS_5EmbedINS4_IJiiEEENS4_IJNS_17integral_constantIiLi1EEEiEEELb0EEENS_7UnMergeINS4_IJiNS7_IiLi4EEEEEELb0EEENS_11PassThroughIiEEEEENS4_IJNS_8SequenceIJLi0EEEENSI_IJLi2EEEENSI_IJLi1EEEEEEENS4_IJNSI_IJLi1ELi2EEEENSI_IJLi3ELi4EEEENSI_IJLi5EEEEEEENSI_IJLi3ELi5ELi4EEEElEENS3_INS4_IJNS5_IS6_NS4_IJiS8_EEELb0EEESE_SG_EEENS4_IJSJ_SL_SK_EEESQ_SR_lEENS3_INS4_IJSU_SG_SG_EEESW_NS4_IJSN_NSI_IJLi3EEEENSI_IJLi4EEEEEEESO_lEELi128ELi128ELi16ELi4ELi4ELi4ELi1ENSI_IJLi8ELi2EEEES13_NSI_IJLi2ELi1ELi4ELi4EEEENSI_IJLi8ELi1ELi32ELi1EEEENSI_IJLi0ELi3ELi1ELi2EEEES16_NSI_IJLi1ELi1ELi4ELi1EEEES16_NSI_IJLi1ELi1ELi4ELi4EEEES14_S15_S16_S16_S17_S16_S18_NSI_IJLi0ELi1ELi2ELi3ELi4ELi5EEEELi5ELi4EEEaaNS3_INS4_IJSA_SE_SG_SG_NSB_INS4_IJiNS7_IiLi128EEEEEELb0EEENSF_ISC_EEEEENS4_IJSJ_SK_SL_SZ_SP_S10_EEENS4_IJSN_SO_SP_NSI_IJLi6EEEENSI_IJLi7ELi8EEEENSI_IJLi9EEEEEEENSI_IJLi6ELi7ELi8ELi9EEEElEENS3_INS4_IJSU_SE_SG_SG_S1D_S1E_EEENS4_IJSJ_SL_SK_SZ_SP_S10_EEES1K_S1L_lEENS3_INS4_IJSU_SG_SG_NSB_INS4_IJiNS7_IiLi2EEENS7_IiLi64EEEEEELb0EEES1T_EEENS4_IJSJ_SL_SK_SZ_S10_EEENS4_IJSN_SZ_S10_NSI_IJLi5ELi6ELi7EEEENSI_IJLi8ELi9ELi10EEEEEEENSI_IJLi5ELi6ELi7ELi8ELi9ELi10EEEElEENS_31BlockToCTileMap_M00_N00_M01_N01ILi128ELi128ES12_Lb0EEELb1ELb1EEEvPKT0_S25_PT1_T2_T3_T4_T5_
		.amdhsa_group_segment_fixed_size 32768
		.amdhsa_private_segment_fixed_size 0
		.amdhsa_kernarg_size 328
		.amdhsa_user_sgpr_count 2
		.amdhsa_user_sgpr_dispatch_ptr 0
		.amdhsa_user_sgpr_queue_ptr 0
		.amdhsa_user_sgpr_kernarg_segment_ptr 1
		.amdhsa_user_sgpr_dispatch_id 0
		.amdhsa_user_sgpr_kernarg_preload_length 0
		.amdhsa_user_sgpr_kernarg_preload_offset 0
		.amdhsa_user_sgpr_private_segment_size 0
		.amdhsa_uses_dynamic_stack 0
		.amdhsa_enable_private_segment 0
		.amdhsa_system_sgpr_workgroup_id_x 1
		.amdhsa_system_sgpr_workgroup_id_y 0
		.amdhsa_system_sgpr_workgroup_id_z 0
		.amdhsa_system_sgpr_workgroup_info 0
		.amdhsa_system_vgpr_workitem_id 0
		.amdhsa_next_free_vgpr 148
		.amdhsa_next_free_sgpr 96
		.amdhsa_accum_offset 148
		.amdhsa_reserve_vcc 1
		.amdhsa_float_round_mode_32 0
		.amdhsa_float_round_mode_16_64 0
		.amdhsa_float_denorm_mode_32 3
		.amdhsa_float_denorm_mode_16_64 3
		.amdhsa_dx10_clamp 1
		.amdhsa_ieee_mode 1
		.amdhsa_fp16_overflow 0
		.amdhsa_tg_split 0
		.amdhsa_exception_fp_ieee_invalid_op 0
		.amdhsa_exception_fp_denorm_src 0
		.amdhsa_exception_fp_ieee_div_zero 0
		.amdhsa_exception_fp_ieee_overflow 0
		.amdhsa_exception_fp_ieee_underflow 0
		.amdhsa_exception_fp_ieee_inexact 0
		.amdhsa_exception_int_div_zero 0
	.end_amdhsa_kernel
	.section	.text._ZN2ck19kernel_gemm_dl_v1r3INS_28GridwiseGemmDl_km_kn_mn_v1r3ILi256EaiaLNS_25InMemoryDataOperationEnumE0ENS_16TensorDescriptorINS_5TupleIJNS_5EmbedINS4_IJiiEEENS4_IJNS_17integral_constantIiLi1EEEiEEELb0EEENS_7UnMergeINS4_IJiNS7_IiLi4EEEEEELb0EEENS_11PassThroughIiEEEEENS4_IJNS_8SequenceIJLi0EEEENSI_IJLi2EEEENSI_IJLi1EEEEEEENS4_IJNSI_IJLi1ELi2EEEENSI_IJLi3ELi4EEEENSI_IJLi5EEEEEEENSI_IJLi3ELi5ELi4EEEElEENS3_INS4_IJNS5_IS6_NS4_IJiS8_EEELb0EEESE_SG_EEENS4_IJSJ_SL_SK_EEESQ_SR_lEENS3_INS4_IJSU_SG_SG_EEESW_NS4_IJSN_NSI_IJLi3EEEENSI_IJLi4EEEEEEESO_lEELi128ELi128ELi16ELi4ELi4ELi4ELi1ENSI_IJLi8ELi2EEEES13_NSI_IJLi2ELi1ELi4ELi4EEEENSI_IJLi8ELi1ELi32ELi1EEEENSI_IJLi0ELi3ELi1ELi2EEEES16_NSI_IJLi1ELi1ELi4ELi1EEEES16_NSI_IJLi1ELi1ELi4ELi4EEEES14_S15_S16_S16_S17_S16_S18_NSI_IJLi0ELi1ELi2ELi3ELi4ELi5EEEELi5ELi4EEEaaNS3_INS4_IJSA_SE_SG_SG_NSB_INS4_IJiNS7_IiLi128EEEEEELb0EEENSF_ISC_EEEEENS4_IJSJ_SK_SL_SZ_SP_S10_EEENS4_IJSN_SO_SP_NSI_IJLi6EEEENSI_IJLi7ELi8EEEENSI_IJLi9EEEEEEENSI_IJLi6ELi7ELi8ELi9EEEElEENS3_INS4_IJSU_SE_SG_SG_S1D_S1E_EEENS4_IJSJ_SL_SK_SZ_SP_S10_EEES1K_S1L_lEENS3_INS4_IJSU_SG_SG_NSB_INS4_IJiNS7_IiLi2EEENS7_IiLi64EEEEEELb0EEES1T_EEENS4_IJSJ_SL_SK_SZ_S10_EEENS4_IJSN_SZ_S10_NSI_IJLi5ELi6ELi7EEEENSI_IJLi8ELi9ELi10EEEEEEENSI_IJLi5ELi6ELi7ELi8ELi9ELi10EEEElEENS_31BlockToCTileMap_M00_N00_M01_N01ILi128ELi128ES12_Lb0EEELb1ELb1EEEvPKT0_S25_PT1_T2_T3_T4_T5_,"axG",@progbits,_ZN2ck19kernel_gemm_dl_v1r3INS_28GridwiseGemmDl_km_kn_mn_v1r3ILi256EaiaLNS_25InMemoryDataOperationEnumE0ENS_16TensorDescriptorINS_5TupleIJNS_5EmbedINS4_IJiiEEENS4_IJNS_17integral_constantIiLi1EEEiEEELb0EEENS_7UnMergeINS4_IJiNS7_IiLi4EEEEEELb0EEENS_11PassThroughIiEEEEENS4_IJNS_8SequenceIJLi0EEEENSI_IJLi2EEEENSI_IJLi1EEEEEEENS4_IJNSI_IJLi1ELi2EEEENSI_IJLi3ELi4EEEENSI_IJLi5EEEEEEENSI_IJLi3ELi5ELi4EEEElEENS3_INS4_IJNS5_IS6_NS4_IJiS8_EEELb0EEESE_SG_EEENS4_IJSJ_SL_SK_EEESQ_SR_lEENS3_INS4_IJSU_SG_SG_EEESW_NS4_IJSN_NSI_IJLi3EEEENSI_IJLi4EEEEEEESO_lEELi128ELi128ELi16ELi4ELi4ELi4ELi1ENSI_IJLi8ELi2EEEES13_NSI_IJLi2ELi1ELi4ELi4EEEENSI_IJLi8ELi1ELi32ELi1EEEENSI_IJLi0ELi3ELi1ELi2EEEES16_NSI_IJLi1ELi1ELi4ELi1EEEES16_NSI_IJLi1ELi1ELi4ELi4EEEES14_S15_S16_S16_S17_S16_S18_NSI_IJLi0ELi1ELi2ELi3ELi4ELi5EEEELi5ELi4EEEaaNS3_INS4_IJSA_SE_SG_SG_NSB_INS4_IJiNS7_IiLi128EEEEEELb0EEENSF_ISC_EEEEENS4_IJSJ_SK_SL_SZ_SP_S10_EEENS4_IJSN_SO_SP_NSI_IJLi6EEEENSI_IJLi7ELi8EEEENSI_IJLi9EEEEEEENSI_IJLi6ELi7ELi8ELi9EEEElEENS3_INS4_IJSU_SE_SG_SG_S1D_S1E_EEENS4_IJSJ_SL_SK_SZ_SP_S10_EEES1K_S1L_lEENS3_INS4_IJSU_SG_SG_NSB_INS4_IJiNS7_IiLi2EEENS7_IiLi64EEEEEELb0EEES1T_EEENS4_IJSJ_SL_SK_SZ_S10_EEENS4_IJSN_SZ_S10_NSI_IJLi5ELi6ELi7EEEENSI_IJLi8ELi9ELi10EEEEEEENSI_IJLi5ELi6ELi7ELi8ELi9ELi10EEEElEENS_31BlockToCTileMap_M00_N00_M01_N01ILi128ELi128ES12_Lb0EEELb1ELb1EEEvPKT0_S25_PT1_T2_T3_T4_T5_,comdat
.Lfunc_end1:
	.size	_ZN2ck19kernel_gemm_dl_v1r3INS_28GridwiseGemmDl_km_kn_mn_v1r3ILi256EaiaLNS_25InMemoryDataOperationEnumE0ENS_16TensorDescriptorINS_5TupleIJNS_5EmbedINS4_IJiiEEENS4_IJNS_17integral_constantIiLi1EEEiEEELb0EEENS_7UnMergeINS4_IJiNS7_IiLi4EEEEEELb0EEENS_11PassThroughIiEEEEENS4_IJNS_8SequenceIJLi0EEEENSI_IJLi2EEEENSI_IJLi1EEEEEEENS4_IJNSI_IJLi1ELi2EEEENSI_IJLi3ELi4EEEENSI_IJLi5EEEEEEENSI_IJLi3ELi5ELi4EEEElEENS3_INS4_IJNS5_IS6_NS4_IJiS8_EEELb0EEESE_SG_EEENS4_IJSJ_SL_SK_EEESQ_SR_lEENS3_INS4_IJSU_SG_SG_EEESW_NS4_IJSN_NSI_IJLi3EEEENSI_IJLi4EEEEEEESO_lEELi128ELi128ELi16ELi4ELi4ELi4ELi1ENSI_IJLi8ELi2EEEES13_NSI_IJLi2ELi1ELi4ELi4EEEENSI_IJLi8ELi1ELi32ELi1EEEENSI_IJLi0ELi3ELi1ELi2EEEES16_NSI_IJLi1ELi1ELi4ELi1EEEES16_NSI_IJLi1ELi1ELi4ELi4EEEES14_S15_S16_S16_S17_S16_S18_NSI_IJLi0ELi1ELi2ELi3ELi4ELi5EEEELi5ELi4EEEaaNS3_INS4_IJSA_SE_SG_SG_NSB_INS4_IJiNS7_IiLi128EEEEEELb0EEENSF_ISC_EEEEENS4_IJSJ_SK_SL_SZ_SP_S10_EEENS4_IJSN_SO_SP_NSI_IJLi6EEEENSI_IJLi7ELi8EEEENSI_IJLi9EEEEEEENSI_IJLi6ELi7ELi8ELi9EEEElEENS3_INS4_IJSU_SE_SG_SG_S1D_S1E_EEENS4_IJSJ_SL_SK_SZ_SP_S10_EEES1K_S1L_lEENS3_INS4_IJSU_SG_SG_NSB_INS4_IJiNS7_IiLi2EEENS7_IiLi64EEEEEELb0EEES1T_EEENS4_IJSJ_SL_SK_SZ_S10_EEENS4_IJSN_SZ_S10_NSI_IJLi5ELi6ELi7EEEENSI_IJLi8ELi9ELi10EEEEEEENSI_IJLi5ELi6ELi7ELi8ELi9ELi10EEEElEENS_31BlockToCTileMap_M00_N00_M01_N01ILi128ELi128ES12_Lb0EEELb1ELb1EEEvPKT0_S25_PT1_T2_T3_T4_T5_, .Lfunc_end1-_ZN2ck19kernel_gemm_dl_v1r3INS_28GridwiseGemmDl_km_kn_mn_v1r3ILi256EaiaLNS_25InMemoryDataOperationEnumE0ENS_16TensorDescriptorINS_5TupleIJNS_5EmbedINS4_IJiiEEENS4_IJNS_17integral_constantIiLi1EEEiEEELb0EEENS_7UnMergeINS4_IJiNS7_IiLi4EEEEEELb0EEENS_11PassThroughIiEEEEENS4_IJNS_8SequenceIJLi0EEEENSI_IJLi2EEEENSI_IJLi1EEEEEEENS4_IJNSI_IJLi1ELi2EEEENSI_IJLi3ELi4EEEENSI_IJLi5EEEEEEENSI_IJLi3ELi5ELi4EEEElEENS3_INS4_IJNS5_IS6_NS4_IJiS8_EEELb0EEESE_SG_EEENS4_IJSJ_SL_SK_EEESQ_SR_lEENS3_INS4_IJSU_SG_SG_EEESW_NS4_IJSN_NSI_IJLi3EEEENSI_IJLi4EEEEEEESO_lEELi128ELi128ELi16ELi4ELi4ELi4ELi1ENSI_IJLi8ELi2EEEES13_NSI_IJLi2ELi1ELi4ELi4EEEENSI_IJLi8ELi1ELi32ELi1EEEENSI_IJLi0ELi3ELi1ELi2EEEES16_NSI_IJLi1ELi1ELi4ELi1EEEES16_NSI_IJLi1ELi1ELi4ELi4EEEES14_S15_S16_S16_S17_S16_S18_NSI_IJLi0ELi1ELi2ELi3ELi4ELi5EEEELi5ELi4EEEaaNS3_INS4_IJSA_SE_SG_SG_NSB_INS4_IJiNS7_IiLi128EEEEEELb0EEENSF_ISC_EEEEENS4_IJSJ_SK_SL_SZ_SP_S10_EEENS4_IJSN_SO_SP_NSI_IJLi6EEEENSI_IJLi7ELi8EEEENSI_IJLi9EEEEEEENSI_IJLi6ELi7ELi8ELi9EEEElEENS3_INS4_IJSU_SE_SG_SG_S1D_S1E_EEENS4_IJSJ_SL_SK_SZ_SP_S10_EEES1K_S1L_lEENS3_INS4_IJSU_SG_SG_NSB_INS4_IJiNS7_IiLi2EEENS7_IiLi64EEEEEELb0EEES1T_EEENS4_IJSJ_SL_SK_SZ_S10_EEENS4_IJSN_SZ_S10_NSI_IJLi5ELi6ELi7EEEENSI_IJLi8ELi9ELi10EEEEEEENSI_IJLi5ELi6ELi7ELi8ELi9ELi10EEEElEENS_31BlockToCTileMap_M00_N00_M01_N01ILi128ELi128ES12_Lb0EEELb1ELb1EEEvPKT0_S25_PT1_T2_T3_T4_T5_
                                        ; -- End function
	.set _ZN2ck19kernel_gemm_dl_v1r3INS_28GridwiseGemmDl_km_kn_mn_v1r3ILi256EaiaLNS_25InMemoryDataOperationEnumE0ENS_16TensorDescriptorINS_5TupleIJNS_5EmbedINS4_IJiiEEENS4_IJNS_17integral_constantIiLi1EEEiEEELb0EEENS_7UnMergeINS4_IJiNS7_IiLi4EEEEEELb0EEENS_11PassThroughIiEEEEENS4_IJNS_8SequenceIJLi0EEEENSI_IJLi2EEEENSI_IJLi1EEEEEEENS4_IJNSI_IJLi1ELi2EEEENSI_IJLi3ELi4EEEENSI_IJLi5EEEEEEENSI_IJLi3ELi5ELi4EEEElEENS3_INS4_IJNS5_IS6_NS4_IJiS8_EEELb0EEESE_SG_EEENS4_IJSJ_SL_SK_EEESQ_SR_lEENS3_INS4_IJSU_SG_SG_EEESW_NS4_IJSN_NSI_IJLi3EEEENSI_IJLi4EEEEEEESO_lEELi128ELi128ELi16ELi4ELi4ELi4ELi1ENSI_IJLi8ELi2EEEES13_NSI_IJLi2ELi1ELi4ELi4EEEENSI_IJLi8ELi1ELi32ELi1EEEENSI_IJLi0ELi3ELi1ELi2EEEES16_NSI_IJLi1ELi1ELi4ELi1EEEES16_NSI_IJLi1ELi1ELi4ELi4EEEES14_S15_S16_S16_S17_S16_S18_NSI_IJLi0ELi1ELi2ELi3ELi4ELi5EEEELi5ELi4EEEaaNS3_INS4_IJSA_SE_SG_SG_NSB_INS4_IJiNS7_IiLi128EEEEEELb0EEENSF_ISC_EEEEENS4_IJSJ_SK_SL_SZ_SP_S10_EEENS4_IJSN_SO_SP_NSI_IJLi6EEEENSI_IJLi7ELi8EEEENSI_IJLi9EEEEEEENSI_IJLi6ELi7ELi8ELi9EEEElEENS3_INS4_IJSU_SE_SG_SG_S1D_S1E_EEENS4_IJSJ_SL_SK_SZ_SP_S10_EEES1K_S1L_lEENS3_INS4_IJSU_SG_SG_NSB_INS4_IJiNS7_IiLi2EEENS7_IiLi64EEEEEELb0EEES1T_EEENS4_IJSJ_SL_SK_SZ_S10_EEENS4_IJSN_SZ_S10_NSI_IJLi5ELi6ELi7EEEENSI_IJLi8ELi9ELi10EEEEEEENSI_IJLi5ELi6ELi7ELi8ELi9ELi10EEEElEENS_31BlockToCTileMap_M00_N00_M01_N01ILi128ELi128ES12_Lb0EEELb1ELb1EEEvPKT0_S25_PT1_T2_T3_T4_T5_.num_vgpr, 148
	.set _ZN2ck19kernel_gemm_dl_v1r3INS_28GridwiseGemmDl_km_kn_mn_v1r3ILi256EaiaLNS_25InMemoryDataOperationEnumE0ENS_16TensorDescriptorINS_5TupleIJNS_5EmbedINS4_IJiiEEENS4_IJNS_17integral_constantIiLi1EEEiEEELb0EEENS_7UnMergeINS4_IJiNS7_IiLi4EEEEEELb0EEENS_11PassThroughIiEEEEENS4_IJNS_8SequenceIJLi0EEEENSI_IJLi2EEEENSI_IJLi1EEEEEEENS4_IJNSI_IJLi1ELi2EEEENSI_IJLi3ELi4EEEENSI_IJLi5EEEEEEENSI_IJLi3ELi5ELi4EEEElEENS3_INS4_IJNS5_IS6_NS4_IJiS8_EEELb0EEESE_SG_EEENS4_IJSJ_SL_SK_EEESQ_SR_lEENS3_INS4_IJSU_SG_SG_EEESW_NS4_IJSN_NSI_IJLi3EEEENSI_IJLi4EEEEEEESO_lEELi128ELi128ELi16ELi4ELi4ELi4ELi1ENSI_IJLi8ELi2EEEES13_NSI_IJLi2ELi1ELi4ELi4EEEENSI_IJLi8ELi1ELi32ELi1EEEENSI_IJLi0ELi3ELi1ELi2EEEES16_NSI_IJLi1ELi1ELi4ELi1EEEES16_NSI_IJLi1ELi1ELi4ELi4EEEES14_S15_S16_S16_S17_S16_S18_NSI_IJLi0ELi1ELi2ELi3ELi4ELi5EEEELi5ELi4EEEaaNS3_INS4_IJSA_SE_SG_SG_NSB_INS4_IJiNS7_IiLi128EEEEEELb0EEENSF_ISC_EEEEENS4_IJSJ_SK_SL_SZ_SP_S10_EEENS4_IJSN_SO_SP_NSI_IJLi6EEEENSI_IJLi7ELi8EEEENSI_IJLi9EEEEEEENSI_IJLi6ELi7ELi8ELi9EEEElEENS3_INS4_IJSU_SE_SG_SG_S1D_S1E_EEENS4_IJSJ_SL_SK_SZ_SP_S10_EEES1K_S1L_lEENS3_INS4_IJSU_SG_SG_NSB_INS4_IJiNS7_IiLi2EEENS7_IiLi64EEEEEELb0EEES1T_EEENS4_IJSJ_SL_SK_SZ_S10_EEENS4_IJSN_SZ_S10_NSI_IJLi5ELi6ELi7EEEENSI_IJLi8ELi9ELi10EEEEEEENSI_IJLi5ELi6ELi7ELi8ELi9ELi10EEEElEENS_31BlockToCTileMap_M00_N00_M01_N01ILi128ELi128ES12_Lb0EEELb1ELb1EEEvPKT0_S25_PT1_T2_T3_T4_T5_.num_agpr, 0
	.set _ZN2ck19kernel_gemm_dl_v1r3INS_28GridwiseGemmDl_km_kn_mn_v1r3ILi256EaiaLNS_25InMemoryDataOperationEnumE0ENS_16TensorDescriptorINS_5TupleIJNS_5EmbedINS4_IJiiEEENS4_IJNS_17integral_constantIiLi1EEEiEEELb0EEENS_7UnMergeINS4_IJiNS7_IiLi4EEEEEELb0EEENS_11PassThroughIiEEEEENS4_IJNS_8SequenceIJLi0EEEENSI_IJLi2EEEENSI_IJLi1EEEEEEENS4_IJNSI_IJLi1ELi2EEEENSI_IJLi3ELi4EEEENSI_IJLi5EEEEEEENSI_IJLi3ELi5ELi4EEEElEENS3_INS4_IJNS5_IS6_NS4_IJiS8_EEELb0EEESE_SG_EEENS4_IJSJ_SL_SK_EEESQ_SR_lEENS3_INS4_IJSU_SG_SG_EEESW_NS4_IJSN_NSI_IJLi3EEEENSI_IJLi4EEEEEEESO_lEELi128ELi128ELi16ELi4ELi4ELi4ELi1ENSI_IJLi8ELi2EEEES13_NSI_IJLi2ELi1ELi4ELi4EEEENSI_IJLi8ELi1ELi32ELi1EEEENSI_IJLi0ELi3ELi1ELi2EEEES16_NSI_IJLi1ELi1ELi4ELi1EEEES16_NSI_IJLi1ELi1ELi4ELi4EEEES14_S15_S16_S16_S17_S16_S18_NSI_IJLi0ELi1ELi2ELi3ELi4ELi5EEEELi5ELi4EEEaaNS3_INS4_IJSA_SE_SG_SG_NSB_INS4_IJiNS7_IiLi128EEEEEELb0EEENSF_ISC_EEEEENS4_IJSJ_SK_SL_SZ_SP_S10_EEENS4_IJSN_SO_SP_NSI_IJLi6EEEENSI_IJLi7ELi8EEEENSI_IJLi9EEEEEEENSI_IJLi6ELi7ELi8ELi9EEEElEENS3_INS4_IJSU_SE_SG_SG_S1D_S1E_EEENS4_IJSJ_SL_SK_SZ_SP_S10_EEES1K_S1L_lEENS3_INS4_IJSU_SG_SG_NSB_INS4_IJiNS7_IiLi2EEENS7_IiLi64EEEEEELb0EEES1T_EEENS4_IJSJ_SL_SK_SZ_S10_EEENS4_IJSN_SZ_S10_NSI_IJLi5ELi6ELi7EEEENSI_IJLi8ELi9ELi10EEEEEEENSI_IJLi5ELi6ELi7ELi8ELi9ELi10EEEElEENS_31BlockToCTileMap_M00_N00_M01_N01ILi128ELi128ES12_Lb0EEELb1ELb1EEEvPKT0_S25_PT1_T2_T3_T4_T5_.numbered_sgpr, 44
	.set _ZN2ck19kernel_gemm_dl_v1r3INS_28GridwiseGemmDl_km_kn_mn_v1r3ILi256EaiaLNS_25InMemoryDataOperationEnumE0ENS_16TensorDescriptorINS_5TupleIJNS_5EmbedINS4_IJiiEEENS4_IJNS_17integral_constantIiLi1EEEiEEELb0EEENS_7UnMergeINS4_IJiNS7_IiLi4EEEEEELb0EEENS_11PassThroughIiEEEEENS4_IJNS_8SequenceIJLi0EEEENSI_IJLi2EEEENSI_IJLi1EEEEEEENS4_IJNSI_IJLi1ELi2EEEENSI_IJLi3ELi4EEEENSI_IJLi5EEEEEEENSI_IJLi3ELi5ELi4EEEElEENS3_INS4_IJNS5_IS6_NS4_IJiS8_EEELb0EEESE_SG_EEENS4_IJSJ_SL_SK_EEESQ_SR_lEENS3_INS4_IJSU_SG_SG_EEESW_NS4_IJSN_NSI_IJLi3EEEENSI_IJLi4EEEEEEESO_lEELi128ELi128ELi16ELi4ELi4ELi4ELi1ENSI_IJLi8ELi2EEEES13_NSI_IJLi2ELi1ELi4ELi4EEEENSI_IJLi8ELi1ELi32ELi1EEEENSI_IJLi0ELi3ELi1ELi2EEEES16_NSI_IJLi1ELi1ELi4ELi1EEEES16_NSI_IJLi1ELi1ELi4ELi4EEEES14_S15_S16_S16_S17_S16_S18_NSI_IJLi0ELi1ELi2ELi3ELi4ELi5EEEELi5ELi4EEEaaNS3_INS4_IJSA_SE_SG_SG_NSB_INS4_IJiNS7_IiLi128EEEEEELb0EEENSF_ISC_EEEEENS4_IJSJ_SK_SL_SZ_SP_S10_EEENS4_IJSN_SO_SP_NSI_IJLi6EEEENSI_IJLi7ELi8EEEENSI_IJLi9EEEEEEENSI_IJLi6ELi7ELi8ELi9EEEElEENS3_INS4_IJSU_SE_SG_SG_S1D_S1E_EEENS4_IJSJ_SL_SK_SZ_SP_S10_EEES1K_S1L_lEENS3_INS4_IJSU_SG_SG_NSB_INS4_IJiNS7_IiLi2EEENS7_IiLi64EEEEEELb0EEES1T_EEENS4_IJSJ_SL_SK_SZ_S10_EEENS4_IJSN_SZ_S10_NSI_IJLi5ELi6ELi7EEEENSI_IJLi8ELi9ELi10EEEEEEENSI_IJLi5ELi6ELi7ELi8ELi9ELi10EEEElEENS_31BlockToCTileMap_M00_N00_M01_N01ILi128ELi128ES12_Lb0EEELb1ELb1EEEvPKT0_S25_PT1_T2_T3_T4_T5_.num_named_barrier, 0
	.set _ZN2ck19kernel_gemm_dl_v1r3INS_28GridwiseGemmDl_km_kn_mn_v1r3ILi256EaiaLNS_25InMemoryDataOperationEnumE0ENS_16TensorDescriptorINS_5TupleIJNS_5EmbedINS4_IJiiEEENS4_IJNS_17integral_constantIiLi1EEEiEEELb0EEENS_7UnMergeINS4_IJiNS7_IiLi4EEEEEELb0EEENS_11PassThroughIiEEEEENS4_IJNS_8SequenceIJLi0EEEENSI_IJLi2EEEENSI_IJLi1EEEEEEENS4_IJNSI_IJLi1ELi2EEEENSI_IJLi3ELi4EEEENSI_IJLi5EEEEEEENSI_IJLi3ELi5ELi4EEEElEENS3_INS4_IJNS5_IS6_NS4_IJiS8_EEELb0EEESE_SG_EEENS4_IJSJ_SL_SK_EEESQ_SR_lEENS3_INS4_IJSU_SG_SG_EEESW_NS4_IJSN_NSI_IJLi3EEEENSI_IJLi4EEEEEEESO_lEELi128ELi128ELi16ELi4ELi4ELi4ELi1ENSI_IJLi8ELi2EEEES13_NSI_IJLi2ELi1ELi4ELi4EEEENSI_IJLi8ELi1ELi32ELi1EEEENSI_IJLi0ELi3ELi1ELi2EEEES16_NSI_IJLi1ELi1ELi4ELi1EEEES16_NSI_IJLi1ELi1ELi4ELi4EEEES14_S15_S16_S16_S17_S16_S18_NSI_IJLi0ELi1ELi2ELi3ELi4ELi5EEEELi5ELi4EEEaaNS3_INS4_IJSA_SE_SG_SG_NSB_INS4_IJiNS7_IiLi128EEEEEELb0EEENSF_ISC_EEEEENS4_IJSJ_SK_SL_SZ_SP_S10_EEENS4_IJSN_SO_SP_NSI_IJLi6EEEENSI_IJLi7ELi8EEEENSI_IJLi9EEEEEEENSI_IJLi6ELi7ELi8ELi9EEEElEENS3_INS4_IJSU_SE_SG_SG_S1D_S1E_EEENS4_IJSJ_SL_SK_SZ_SP_S10_EEES1K_S1L_lEENS3_INS4_IJSU_SG_SG_NSB_INS4_IJiNS7_IiLi2EEENS7_IiLi64EEEEEELb0EEES1T_EEENS4_IJSJ_SL_SK_SZ_S10_EEENS4_IJSN_SZ_S10_NSI_IJLi5ELi6ELi7EEEENSI_IJLi8ELi9ELi10EEEEEEENSI_IJLi5ELi6ELi7ELi8ELi9ELi10EEEElEENS_31BlockToCTileMap_M00_N00_M01_N01ILi128ELi128ES12_Lb0EEELb1ELb1EEEvPKT0_S25_PT1_T2_T3_T4_T5_.private_seg_size, 0
	.set _ZN2ck19kernel_gemm_dl_v1r3INS_28GridwiseGemmDl_km_kn_mn_v1r3ILi256EaiaLNS_25InMemoryDataOperationEnumE0ENS_16TensorDescriptorINS_5TupleIJNS_5EmbedINS4_IJiiEEENS4_IJNS_17integral_constantIiLi1EEEiEEELb0EEENS_7UnMergeINS4_IJiNS7_IiLi4EEEEEELb0EEENS_11PassThroughIiEEEEENS4_IJNS_8SequenceIJLi0EEEENSI_IJLi2EEEENSI_IJLi1EEEEEEENS4_IJNSI_IJLi1ELi2EEEENSI_IJLi3ELi4EEEENSI_IJLi5EEEEEEENSI_IJLi3ELi5ELi4EEEElEENS3_INS4_IJNS5_IS6_NS4_IJiS8_EEELb0EEESE_SG_EEENS4_IJSJ_SL_SK_EEESQ_SR_lEENS3_INS4_IJSU_SG_SG_EEESW_NS4_IJSN_NSI_IJLi3EEEENSI_IJLi4EEEEEEESO_lEELi128ELi128ELi16ELi4ELi4ELi4ELi1ENSI_IJLi8ELi2EEEES13_NSI_IJLi2ELi1ELi4ELi4EEEENSI_IJLi8ELi1ELi32ELi1EEEENSI_IJLi0ELi3ELi1ELi2EEEES16_NSI_IJLi1ELi1ELi4ELi1EEEES16_NSI_IJLi1ELi1ELi4ELi4EEEES14_S15_S16_S16_S17_S16_S18_NSI_IJLi0ELi1ELi2ELi3ELi4ELi5EEEELi5ELi4EEEaaNS3_INS4_IJSA_SE_SG_SG_NSB_INS4_IJiNS7_IiLi128EEEEEELb0EEENSF_ISC_EEEEENS4_IJSJ_SK_SL_SZ_SP_S10_EEENS4_IJSN_SO_SP_NSI_IJLi6EEEENSI_IJLi7ELi8EEEENSI_IJLi9EEEEEEENSI_IJLi6ELi7ELi8ELi9EEEElEENS3_INS4_IJSU_SE_SG_SG_S1D_S1E_EEENS4_IJSJ_SL_SK_SZ_SP_S10_EEES1K_S1L_lEENS3_INS4_IJSU_SG_SG_NSB_INS4_IJiNS7_IiLi2EEENS7_IiLi64EEEEEELb0EEES1T_EEENS4_IJSJ_SL_SK_SZ_S10_EEENS4_IJSN_SZ_S10_NSI_IJLi5ELi6ELi7EEEENSI_IJLi8ELi9ELi10EEEEEEENSI_IJLi5ELi6ELi7ELi8ELi9ELi10EEEElEENS_31BlockToCTileMap_M00_N00_M01_N01ILi128ELi128ES12_Lb0EEELb1ELb1EEEvPKT0_S25_PT1_T2_T3_T4_T5_.uses_vcc, 1
	.set _ZN2ck19kernel_gemm_dl_v1r3INS_28GridwiseGemmDl_km_kn_mn_v1r3ILi256EaiaLNS_25InMemoryDataOperationEnumE0ENS_16TensorDescriptorINS_5TupleIJNS_5EmbedINS4_IJiiEEENS4_IJNS_17integral_constantIiLi1EEEiEEELb0EEENS_7UnMergeINS4_IJiNS7_IiLi4EEEEEELb0EEENS_11PassThroughIiEEEEENS4_IJNS_8SequenceIJLi0EEEENSI_IJLi2EEEENSI_IJLi1EEEEEEENS4_IJNSI_IJLi1ELi2EEEENSI_IJLi3ELi4EEEENSI_IJLi5EEEEEEENSI_IJLi3ELi5ELi4EEEElEENS3_INS4_IJNS5_IS6_NS4_IJiS8_EEELb0EEESE_SG_EEENS4_IJSJ_SL_SK_EEESQ_SR_lEENS3_INS4_IJSU_SG_SG_EEESW_NS4_IJSN_NSI_IJLi3EEEENSI_IJLi4EEEEEEESO_lEELi128ELi128ELi16ELi4ELi4ELi4ELi1ENSI_IJLi8ELi2EEEES13_NSI_IJLi2ELi1ELi4ELi4EEEENSI_IJLi8ELi1ELi32ELi1EEEENSI_IJLi0ELi3ELi1ELi2EEEES16_NSI_IJLi1ELi1ELi4ELi1EEEES16_NSI_IJLi1ELi1ELi4ELi4EEEES14_S15_S16_S16_S17_S16_S18_NSI_IJLi0ELi1ELi2ELi3ELi4ELi5EEEELi5ELi4EEEaaNS3_INS4_IJSA_SE_SG_SG_NSB_INS4_IJiNS7_IiLi128EEEEEELb0EEENSF_ISC_EEEEENS4_IJSJ_SK_SL_SZ_SP_S10_EEENS4_IJSN_SO_SP_NSI_IJLi6EEEENSI_IJLi7ELi8EEEENSI_IJLi9EEEEEEENSI_IJLi6ELi7ELi8ELi9EEEElEENS3_INS4_IJSU_SE_SG_SG_S1D_S1E_EEENS4_IJSJ_SL_SK_SZ_SP_S10_EEES1K_S1L_lEENS3_INS4_IJSU_SG_SG_NSB_INS4_IJiNS7_IiLi2EEENS7_IiLi64EEEEEELb0EEES1T_EEENS4_IJSJ_SL_SK_SZ_S10_EEENS4_IJSN_SZ_S10_NSI_IJLi5ELi6ELi7EEEENSI_IJLi8ELi9ELi10EEEEEEENSI_IJLi5ELi6ELi7ELi8ELi9ELi10EEEElEENS_31BlockToCTileMap_M00_N00_M01_N01ILi128ELi128ES12_Lb0EEELb1ELb1EEEvPKT0_S25_PT1_T2_T3_T4_T5_.uses_flat_scratch, 0
	.set _ZN2ck19kernel_gemm_dl_v1r3INS_28GridwiseGemmDl_km_kn_mn_v1r3ILi256EaiaLNS_25InMemoryDataOperationEnumE0ENS_16TensorDescriptorINS_5TupleIJNS_5EmbedINS4_IJiiEEENS4_IJNS_17integral_constantIiLi1EEEiEEELb0EEENS_7UnMergeINS4_IJiNS7_IiLi4EEEEEELb0EEENS_11PassThroughIiEEEEENS4_IJNS_8SequenceIJLi0EEEENSI_IJLi2EEEENSI_IJLi1EEEEEEENS4_IJNSI_IJLi1ELi2EEEENSI_IJLi3ELi4EEEENSI_IJLi5EEEEEEENSI_IJLi3ELi5ELi4EEEElEENS3_INS4_IJNS5_IS6_NS4_IJiS8_EEELb0EEESE_SG_EEENS4_IJSJ_SL_SK_EEESQ_SR_lEENS3_INS4_IJSU_SG_SG_EEESW_NS4_IJSN_NSI_IJLi3EEEENSI_IJLi4EEEEEEESO_lEELi128ELi128ELi16ELi4ELi4ELi4ELi1ENSI_IJLi8ELi2EEEES13_NSI_IJLi2ELi1ELi4ELi4EEEENSI_IJLi8ELi1ELi32ELi1EEEENSI_IJLi0ELi3ELi1ELi2EEEES16_NSI_IJLi1ELi1ELi4ELi1EEEES16_NSI_IJLi1ELi1ELi4ELi4EEEES14_S15_S16_S16_S17_S16_S18_NSI_IJLi0ELi1ELi2ELi3ELi4ELi5EEEELi5ELi4EEEaaNS3_INS4_IJSA_SE_SG_SG_NSB_INS4_IJiNS7_IiLi128EEEEEELb0EEENSF_ISC_EEEEENS4_IJSJ_SK_SL_SZ_SP_S10_EEENS4_IJSN_SO_SP_NSI_IJLi6EEEENSI_IJLi7ELi8EEEENSI_IJLi9EEEEEEENSI_IJLi6ELi7ELi8ELi9EEEElEENS3_INS4_IJSU_SE_SG_SG_S1D_S1E_EEENS4_IJSJ_SL_SK_SZ_SP_S10_EEES1K_S1L_lEENS3_INS4_IJSU_SG_SG_NSB_INS4_IJiNS7_IiLi2EEENS7_IiLi64EEEEEELb0EEES1T_EEENS4_IJSJ_SL_SK_SZ_S10_EEENS4_IJSN_SZ_S10_NSI_IJLi5ELi6ELi7EEEENSI_IJLi8ELi9ELi10EEEEEEENSI_IJLi5ELi6ELi7ELi8ELi9ELi10EEEElEENS_31BlockToCTileMap_M00_N00_M01_N01ILi128ELi128ES12_Lb0EEELb1ELb1EEEvPKT0_S25_PT1_T2_T3_T4_T5_.has_dyn_sized_stack, 0
	.set _ZN2ck19kernel_gemm_dl_v1r3INS_28GridwiseGemmDl_km_kn_mn_v1r3ILi256EaiaLNS_25InMemoryDataOperationEnumE0ENS_16TensorDescriptorINS_5TupleIJNS_5EmbedINS4_IJiiEEENS4_IJNS_17integral_constantIiLi1EEEiEEELb0EEENS_7UnMergeINS4_IJiNS7_IiLi4EEEEEELb0EEENS_11PassThroughIiEEEEENS4_IJNS_8SequenceIJLi0EEEENSI_IJLi2EEEENSI_IJLi1EEEEEEENS4_IJNSI_IJLi1ELi2EEEENSI_IJLi3ELi4EEEENSI_IJLi5EEEEEEENSI_IJLi3ELi5ELi4EEEElEENS3_INS4_IJNS5_IS6_NS4_IJiS8_EEELb0EEESE_SG_EEENS4_IJSJ_SL_SK_EEESQ_SR_lEENS3_INS4_IJSU_SG_SG_EEESW_NS4_IJSN_NSI_IJLi3EEEENSI_IJLi4EEEEEEESO_lEELi128ELi128ELi16ELi4ELi4ELi4ELi1ENSI_IJLi8ELi2EEEES13_NSI_IJLi2ELi1ELi4ELi4EEEENSI_IJLi8ELi1ELi32ELi1EEEENSI_IJLi0ELi3ELi1ELi2EEEES16_NSI_IJLi1ELi1ELi4ELi1EEEES16_NSI_IJLi1ELi1ELi4ELi4EEEES14_S15_S16_S16_S17_S16_S18_NSI_IJLi0ELi1ELi2ELi3ELi4ELi5EEEELi5ELi4EEEaaNS3_INS4_IJSA_SE_SG_SG_NSB_INS4_IJiNS7_IiLi128EEEEEELb0EEENSF_ISC_EEEEENS4_IJSJ_SK_SL_SZ_SP_S10_EEENS4_IJSN_SO_SP_NSI_IJLi6EEEENSI_IJLi7ELi8EEEENSI_IJLi9EEEEEEENSI_IJLi6ELi7ELi8ELi9EEEElEENS3_INS4_IJSU_SE_SG_SG_S1D_S1E_EEENS4_IJSJ_SL_SK_SZ_SP_S10_EEES1K_S1L_lEENS3_INS4_IJSU_SG_SG_NSB_INS4_IJiNS7_IiLi2EEENS7_IiLi64EEEEEELb0EEES1T_EEENS4_IJSJ_SL_SK_SZ_S10_EEENS4_IJSN_SZ_S10_NSI_IJLi5ELi6ELi7EEEENSI_IJLi8ELi9ELi10EEEEEEENSI_IJLi5ELi6ELi7ELi8ELi9ELi10EEEElEENS_31BlockToCTileMap_M00_N00_M01_N01ILi128ELi128ES12_Lb0EEELb1ELb1EEEvPKT0_S25_PT1_T2_T3_T4_T5_.has_recursion, 0
	.set _ZN2ck19kernel_gemm_dl_v1r3INS_28GridwiseGemmDl_km_kn_mn_v1r3ILi256EaiaLNS_25InMemoryDataOperationEnumE0ENS_16TensorDescriptorINS_5TupleIJNS_5EmbedINS4_IJiiEEENS4_IJNS_17integral_constantIiLi1EEEiEEELb0EEENS_7UnMergeINS4_IJiNS7_IiLi4EEEEEELb0EEENS_11PassThroughIiEEEEENS4_IJNS_8SequenceIJLi0EEEENSI_IJLi2EEEENSI_IJLi1EEEEEEENS4_IJNSI_IJLi1ELi2EEEENSI_IJLi3ELi4EEEENSI_IJLi5EEEEEEENSI_IJLi3ELi5ELi4EEEElEENS3_INS4_IJNS5_IS6_NS4_IJiS8_EEELb0EEESE_SG_EEENS4_IJSJ_SL_SK_EEESQ_SR_lEENS3_INS4_IJSU_SG_SG_EEESW_NS4_IJSN_NSI_IJLi3EEEENSI_IJLi4EEEEEEESO_lEELi128ELi128ELi16ELi4ELi4ELi4ELi1ENSI_IJLi8ELi2EEEES13_NSI_IJLi2ELi1ELi4ELi4EEEENSI_IJLi8ELi1ELi32ELi1EEEENSI_IJLi0ELi3ELi1ELi2EEEES16_NSI_IJLi1ELi1ELi4ELi1EEEES16_NSI_IJLi1ELi1ELi4ELi4EEEES14_S15_S16_S16_S17_S16_S18_NSI_IJLi0ELi1ELi2ELi3ELi4ELi5EEEELi5ELi4EEEaaNS3_INS4_IJSA_SE_SG_SG_NSB_INS4_IJiNS7_IiLi128EEEEEELb0EEENSF_ISC_EEEEENS4_IJSJ_SK_SL_SZ_SP_S10_EEENS4_IJSN_SO_SP_NSI_IJLi6EEEENSI_IJLi7ELi8EEEENSI_IJLi9EEEEEEENSI_IJLi6ELi7ELi8ELi9EEEElEENS3_INS4_IJSU_SE_SG_SG_S1D_S1E_EEENS4_IJSJ_SL_SK_SZ_SP_S10_EEES1K_S1L_lEENS3_INS4_IJSU_SG_SG_NSB_INS4_IJiNS7_IiLi2EEENS7_IiLi64EEEEEELb0EEES1T_EEENS4_IJSJ_SL_SK_SZ_S10_EEENS4_IJSN_SZ_S10_NSI_IJLi5ELi6ELi7EEEENSI_IJLi8ELi9ELi10EEEEEEENSI_IJLi5ELi6ELi7ELi8ELi9ELi10EEEElEENS_31BlockToCTileMap_M00_N00_M01_N01ILi128ELi128ES12_Lb0EEELb1ELb1EEEvPKT0_S25_PT1_T2_T3_T4_T5_.has_indirect_call, 0
	.section	.AMDGPU.csdata,"",@progbits
; Kernel info:
; codeLenInByte = 24220
; TotalNumSgprs: 50
; NumVgprs: 148
; NumAgprs: 0
; TotalNumVgprs: 148
; ScratchSize: 0
; MemoryBound: 0
; FloatMode: 240
; IeeeMode: 1
; LDSByteSize: 32768 bytes/workgroup (compile time only)
; SGPRBlocks: 12
; VGPRBlocks: 18
; NumSGPRsForWavesPerEU: 102
; NumVGPRsForWavesPerEU: 148
; AccumOffset: 148
; Occupancy: 3
; WaveLimiterHint : 0
; COMPUTE_PGM_RSRC2:SCRATCH_EN: 0
; COMPUTE_PGM_RSRC2:USER_SGPR: 2
; COMPUTE_PGM_RSRC2:TRAP_HANDLER: 0
; COMPUTE_PGM_RSRC2:TGID_X_EN: 1
; COMPUTE_PGM_RSRC2:TGID_Y_EN: 0
; COMPUTE_PGM_RSRC2:TGID_Z_EN: 0
; COMPUTE_PGM_RSRC2:TIDIG_COMP_CNT: 0
; COMPUTE_PGM_RSRC3_GFX90A:ACCUM_OFFSET: 36
; COMPUTE_PGM_RSRC3_GFX90A:TG_SPLIT: 0
	.section	.text._ZN2ck19kernel_gemm_dl_v1r3INS_28GridwiseGemmDl_km_kn_mn_v1r3ILi256EaiaLNS_25InMemoryDataOperationEnumE0ENS_16TensorDescriptorINS_5TupleIJNS_5EmbedINS4_IJiiEEENS4_IJNS_17integral_constantIiLi1EEEiEEELb0EEENS_7UnMergeINS4_IJiNS7_IiLi4EEEEEELb0EEENS_11PassThroughIiEEEEENS4_IJNS_8SequenceIJLi0EEEENSI_IJLi2EEEENSI_IJLi1EEEEEEENS4_IJNSI_IJLi1ELi2EEEENSI_IJLi3ELi4EEEENSI_IJLi5EEEEEEENSI_IJLi3ELi5ELi4EEEElEENS3_INS4_IJNS5_IS6_NS4_IJiS8_EEELb0EEESE_SG_EEENS4_IJSJ_SL_SK_EEESQ_SR_lEENS3_INS4_IJSU_SG_SG_EEESW_NS4_IJSN_NSI_IJLi3EEEENSI_IJLi4EEEEEEESO_lEELi128ELi128ELi16ELi4ELi4ELi4ELi1ENSI_IJLi8ELi2EEEES13_NSI_IJLi2ELi1ELi4ELi4EEEENSI_IJLi8ELi1ELi32ELi1EEEENSI_IJLi0ELi3ELi1ELi2EEEES16_NSI_IJLi1ELi1ELi4ELi1EEEES16_NSI_IJLi1ELi1ELi4ELi4EEEES14_S15_S16_S16_S17_S16_S18_NSI_IJLi0ELi1ELi2ELi3ELi4ELi5EEEELi5ELi4EEEaaNS3_INS4_IJSA_SE_SG_SG_NSB_INS4_IJiNS7_IiLi128EEEEEELb0EEENSF_ISC_EEEEENS4_IJSJ_SK_SL_SZ_SP_S10_EEENS4_IJSN_SO_SP_NSI_IJLi6EEEENSI_IJLi7ELi8EEEENSI_IJLi9EEEEEEENSI_IJLi6ELi7ELi8ELi9EEEElEENS3_INS4_IJSU_SE_SG_SG_S1D_S1E_EEENS4_IJSJ_SL_SK_SZ_SP_S10_EEES1K_S1L_lEENS3_INS4_IJSU_SG_SG_NSB_INS4_IJiNS7_IiLi2EEENS7_IiLi64EEEEEELb0EEES1T_EEENS4_IJSJ_SL_SK_SZ_S10_EEENS4_IJSN_SZ_S10_NSI_IJLi5ELi6ELi7EEEENSI_IJLi8ELi9ELi10EEEEEEENSI_IJLi5ELi6ELi7ELi8ELi9ELi10EEEElEENS_31BlockToCTileMap_M00_N00_M01_N01ILi128ELi128ES12_Lb0EEELb1ELb0EEEvPKT0_S25_PT1_T2_T3_T4_T5_,"axG",@progbits,_ZN2ck19kernel_gemm_dl_v1r3INS_28GridwiseGemmDl_km_kn_mn_v1r3ILi256EaiaLNS_25InMemoryDataOperationEnumE0ENS_16TensorDescriptorINS_5TupleIJNS_5EmbedINS4_IJiiEEENS4_IJNS_17integral_constantIiLi1EEEiEEELb0EEENS_7UnMergeINS4_IJiNS7_IiLi4EEEEEELb0EEENS_11PassThroughIiEEEEENS4_IJNS_8SequenceIJLi0EEEENSI_IJLi2EEEENSI_IJLi1EEEEEEENS4_IJNSI_IJLi1ELi2EEEENSI_IJLi3ELi4EEEENSI_IJLi5EEEEEEENSI_IJLi3ELi5ELi4EEEElEENS3_INS4_IJNS5_IS6_NS4_IJiS8_EEELb0EEESE_SG_EEENS4_IJSJ_SL_SK_EEESQ_SR_lEENS3_INS4_IJSU_SG_SG_EEESW_NS4_IJSN_NSI_IJLi3EEEENSI_IJLi4EEEEEEESO_lEELi128ELi128ELi16ELi4ELi4ELi4ELi1ENSI_IJLi8ELi2EEEES13_NSI_IJLi2ELi1ELi4ELi4EEEENSI_IJLi8ELi1ELi32ELi1EEEENSI_IJLi0ELi3ELi1ELi2EEEES16_NSI_IJLi1ELi1ELi4ELi1EEEES16_NSI_IJLi1ELi1ELi4ELi4EEEES14_S15_S16_S16_S17_S16_S18_NSI_IJLi0ELi1ELi2ELi3ELi4ELi5EEEELi5ELi4EEEaaNS3_INS4_IJSA_SE_SG_SG_NSB_INS4_IJiNS7_IiLi128EEEEEELb0EEENSF_ISC_EEEEENS4_IJSJ_SK_SL_SZ_SP_S10_EEENS4_IJSN_SO_SP_NSI_IJLi6EEEENSI_IJLi7ELi8EEEENSI_IJLi9EEEEEEENSI_IJLi6ELi7ELi8ELi9EEEElEENS3_INS4_IJSU_SE_SG_SG_S1D_S1E_EEENS4_IJSJ_SL_SK_SZ_SP_S10_EEES1K_S1L_lEENS3_INS4_IJSU_SG_SG_NSB_INS4_IJiNS7_IiLi2EEENS7_IiLi64EEEEEELb0EEES1T_EEENS4_IJSJ_SL_SK_SZ_S10_EEENS4_IJSN_SZ_S10_NSI_IJLi5ELi6ELi7EEEENSI_IJLi8ELi9ELi10EEEEEEENSI_IJLi5ELi6ELi7ELi8ELi9ELi10EEEElEENS_31BlockToCTileMap_M00_N00_M01_N01ILi128ELi128ES12_Lb0EEELb1ELb0EEEvPKT0_S25_PT1_T2_T3_T4_T5_,comdat
	.protected	_ZN2ck19kernel_gemm_dl_v1r3INS_28GridwiseGemmDl_km_kn_mn_v1r3ILi256EaiaLNS_25InMemoryDataOperationEnumE0ENS_16TensorDescriptorINS_5TupleIJNS_5EmbedINS4_IJiiEEENS4_IJNS_17integral_constantIiLi1EEEiEEELb0EEENS_7UnMergeINS4_IJiNS7_IiLi4EEEEEELb0EEENS_11PassThroughIiEEEEENS4_IJNS_8SequenceIJLi0EEEENSI_IJLi2EEEENSI_IJLi1EEEEEEENS4_IJNSI_IJLi1ELi2EEEENSI_IJLi3ELi4EEEENSI_IJLi5EEEEEEENSI_IJLi3ELi5ELi4EEEElEENS3_INS4_IJNS5_IS6_NS4_IJiS8_EEELb0EEESE_SG_EEENS4_IJSJ_SL_SK_EEESQ_SR_lEENS3_INS4_IJSU_SG_SG_EEESW_NS4_IJSN_NSI_IJLi3EEEENSI_IJLi4EEEEEEESO_lEELi128ELi128ELi16ELi4ELi4ELi4ELi1ENSI_IJLi8ELi2EEEES13_NSI_IJLi2ELi1ELi4ELi4EEEENSI_IJLi8ELi1ELi32ELi1EEEENSI_IJLi0ELi3ELi1ELi2EEEES16_NSI_IJLi1ELi1ELi4ELi1EEEES16_NSI_IJLi1ELi1ELi4ELi4EEEES14_S15_S16_S16_S17_S16_S18_NSI_IJLi0ELi1ELi2ELi3ELi4ELi5EEEELi5ELi4EEEaaNS3_INS4_IJSA_SE_SG_SG_NSB_INS4_IJiNS7_IiLi128EEEEEELb0EEENSF_ISC_EEEEENS4_IJSJ_SK_SL_SZ_SP_S10_EEENS4_IJSN_SO_SP_NSI_IJLi6EEEENSI_IJLi7ELi8EEEENSI_IJLi9EEEEEEENSI_IJLi6ELi7ELi8ELi9EEEElEENS3_INS4_IJSU_SE_SG_SG_S1D_S1E_EEENS4_IJSJ_SL_SK_SZ_SP_S10_EEES1K_S1L_lEENS3_INS4_IJSU_SG_SG_NSB_INS4_IJiNS7_IiLi2EEENS7_IiLi64EEEEEELb0EEES1T_EEENS4_IJSJ_SL_SK_SZ_S10_EEENS4_IJSN_SZ_S10_NSI_IJLi5ELi6ELi7EEEENSI_IJLi8ELi9ELi10EEEEEEENSI_IJLi5ELi6ELi7ELi8ELi9ELi10EEEElEENS_31BlockToCTileMap_M00_N00_M01_N01ILi128ELi128ES12_Lb0EEELb1ELb0EEEvPKT0_S25_PT1_T2_T3_T4_T5_ ; -- Begin function _ZN2ck19kernel_gemm_dl_v1r3INS_28GridwiseGemmDl_km_kn_mn_v1r3ILi256EaiaLNS_25InMemoryDataOperationEnumE0ENS_16TensorDescriptorINS_5TupleIJNS_5EmbedINS4_IJiiEEENS4_IJNS_17integral_constantIiLi1EEEiEEELb0EEENS_7UnMergeINS4_IJiNS7_IiLi4EEEEEELb0EEENS_11PassThroughIiEEEEENS4_IJNS_8SequenceIJLi0EEEENSI_IJLi2EEEENSI_IJLi1EEEEEEENS4_IJNSI_IJLi1ELi2EEEENSI_IJLi3ELi4EEEENSI_IJLi5EEEEEEENSI_IJLi3ELi5ELi4EEEElEENS3_INS4_IJNS5_IS6_NS4_IJiS8_EEELb0EEESE_SG_EEENS4_IJSJ_SL_SK_EEESQ_SR_lEENS3_INS4_IJSU_SG_SG_EEESW_NS4_IJSN_NSI_IJLi3EEEENSI_IJLi4EEEEEEESO_lEELi128ELi128ELi16ELi4ELi4ELi4ELi1ENSI_IJLi8ELi2EEEES13_NSI_IJLi2ELi1ELi4ELi4EEEENSI_IJLi8ELi1ELi32ELi1EEEENSI_IJLi0ELi3ELi1ELi2EEEES16_NSI_IJLi1ELi1ELi4ELi1EEEES16_NSI_IJLi1ELi1ELi4ELi4EEEES14_S15_S16_S16_S17_S16_S18_NSI_IJLi0ELi1ELi2ELi3ELi4ELi5EEEELi5ELi4EEEaaNS3_INS4_IJSA_SE_SG_SG_NSB_INS4_IJiNS7_IiLi128EEEEEELb0EEENSF_ISC_EEEEENS4_IJSJ_SK_SL_SZ_SP_S10_EEENS4_IJSN_SO_SP_NSI_IJLi6EEEENSI_IJLi7ELi8EEEENSI_IJLi9EEEEEEENSI_IJLi6ELi7ELi8ELi9EEEElEENS3_INS4_IJSU_SE_SG_SG_S1D_S1E_EEENS4_IJSJ_SL_SK_SZ_SP_S10_EEES1K_S1L_lEENS3_INS4_IJSU_SG_SG_NSB_INS4_IJiNS7_IiLi2EEENS7_IiLi64EEEEEELb0EEES1T_EEENS4_IJSJ_SL_SK_SZ_S10_EEENS4_IJSN_SZ_S10_NSI_IJLi5ELi6ELi7EEEENSI_IJLi8ELi9ELi10EEEEEEENSI_IJLi5ELi6ELi7ELi8ELi9ELi10EEEElEENS_31BlockToCTileMap_M00_N00_M01_N01ILi128ELi128ES12_Lb0EEELb1ELb0EEEvPKT0_S25_PT1_T2_T3_T4_T5_
	.globl	_ZN2ck19kernel_gemm_dl_v1r3INS_28GridwiseGemmDl_km_kn_mn_v1r3ILi256EaiaLNS_25InMemoryDataOperationEnumE0ENS_16TensorDescriptorINS_5TupleIJNS_5EmbedINS4_IJiiEEENS4_IJNS_17integral_constantIiLi1EEEiEEELb0EEENS_7UnMergeINS4_IJiNS7_IiLi4EEEEEELb0EEENS_11PassThroughIiEEEEENS4_IJNS_8SequenceIJLi0EEEENSI_IJLi2EEEENSI_IJLi1EEEEEEENS4_IJNSI_IJLi1ELi2EEEENSI_IJLi3ELi4EEEENSI_IJLi5EEEEEEENSI_IJLi3ELi5ELi4EEEElEENS3_INS4_IJNS5_IS6_NS4_IJiS8_EEELb0EEESE_SG_EEENS4_IJSJ_SL_SK_EEESQ_SR_lEENS3_INS4_IJSU_SG_SG_EEESW_NS4_IJSN_NSI_IJLi3EEEENSI_IJLi4EEEEEEESO_lEELi128ELi128ELi16ELi4ELi4ELi4ELi1ENSI_IJLi8ELi2EEEES13_NSI_IJLi2ELi1ELi4ELi4EEEENSI_IJLi8ELi1ELi32ELi1EEEENSI_IJLi0ELi3ELi1ELi2EEEES16_NSI_IJLi1ELi1ELi4ELi1EEEES16_NSI_IJLi1ELi1ELi4ELi4EEEES14_S15_S16_S16_S17_S16_S18_NSI_IJLi0ELi1ELi2ELi3ELi4ELi5EEEELi5ELi4EEEaaNS3_INS4_IJSA_SE_SG_SG_NSB_INS4_IJiNS7_IiLi128EEEEEELb0EEENSF_ISC_EEEEENS4_IJSJ_SK_SL_SZ_SP_S10_EEENS4_IJSN_SO_SP_NSI_IJLi6EEEENSI_IJLi7ELi8EEEENSI_IJLi9EEEEEEENSI_IJLi6ELi7ELi8ELi9EEEElEENS3_INS4_IJSU_SE_SG_SG_S1D_S1E_EEENS4_IJSJ_SL_SK_SZ_SP_S10_EEES1K_S1L_lEENS3_INS4_IJSU_SG_SG_NSB_INS4_IJiNS7_IiLi2EEENS7_IiLi64EEEEEELb0EEES1T_EEENS4_IJSJ_SL_SK_SZ_S10_EEENS4_IJSN_SZ_S10_NSI_IJLi5ELi6ELi7EEEENSI_IJLi8ELi9ELi10EEEEEEENSI_IJLi5ELi6ELi7ELi8ELi9ELi10EEEElEENS_31BlockToCTileMap_M00_N00_M01_N01ILi128ELi128ES12_Lb0EEELb1ELb0EEEvPKT0_S25_PT1_T2_T3_T4_T5_
	.p2align	8
	.type	_ZN2ck19kernel_gemm_dl_v1r3INS_28GridwiseGemmDl_km_kn_mn_v1r3ILi256EaiaLNS_25InMemoryDataOperationEnumE0ENS_16TensorDescriptorINS_5TupleIJNS_5EmbedINS4_IJiiEEENS4_IJNS_17integral_constantIiLi1EEEiEEELb0EEENS_7UnMergeINS4_IJiNS7_IiLi4EEEEEELb0EEENS_11PassThroughIiEEEEENS4_IJNS_8SequenceIJLi0EEEENSI_IJLi2EEEENSI_IJLi1EEEEEEENS4_IJNSI_IJLi1ELi2EEEENSI_IJLi3ELi4EEEENSI_IJLi5EEEEEEENSI_IJLi3ELi5ELi4EEEElEENS3_INS4_IJNS5_IS6_NS4_IJiS8_EEELb0EEESE_SG_EEENS4_IJSJ_SL_SK_EEESQ_SR_lEENS3_INS4_IJSU_SG_SG_EEESW_NS4_IJSN_NSI_IJLi3EEEENSI_IJLi4EEEEEEESO_lEELi128ELi128ELi16ELi4ELi4ELi4ELi1ENSI_IJLi8ELi2EEEES13_NSI_IJLi2ELi1ELi4ELi4EEEENSI_IJLi8ELi1ELi32ELi1EEEENSI_IJLi0ELi3ELi1ELi2EEEES16_NSI_IJLi1ELi1ELi4ELi1EEEES16_NSI_IJLi1ELi1ELi4ELi4EEEES14_S15_S16_S16_S17_S16_S18_NSI_IJLi0ELi1ELi2ELi3ELi4ELi5EEEELi5ELi4EEEaaNS3_INS4_IJSA_SE_SG_SG_NSB_INS4_IJiNS7_IiLi128EEEEEELb0EEENSF_ISC_EEEEENS4_IJSJ_SK_SL_SZ_SP_S10_EEENS4_IJSN_SO_SP_NSI_IJLi6EEEENSI_IJLi7ELi8EEEENSI_IJLi9EEEEEEENSI_IJLi6ELi7ELi8ELi9EEEElEENS3_INS4_IJSU_SE_SG_SG_S1D_S1E_EEENS4_IJSJ_SL_SK_SZ_SP_S10_EEES1K_S1L_lEENS3_INS4_IJSU_SG_SG_NSB_INS4_IJiNS7_IiLi2EEENS7_IiLi64EEEEEELb0EEES1T_EEENS4_IJSJ_SL_SK_SZ_S10_EEENS4_IJSN_SZ_S10_NSI_IJLi5ELi6ELi7EEEENSI_IJLi8ELi9ELi10EEEEEEENSI_IJLi5ELi6ELi7ELi8ELi9ELi10EEEElEENS_31BlockToCTileMap_M00_N00_M01_N01ILi128ELi128ES12_Lb0EEELb1ELb0EEEvPKT0_S25_PT1_T2_T3_T4_T5_,@function
_ZN2ck19kernel_gemm_dl_v1r3INS_28GridwiseGemmDl_km_kn_mn_v1r3ILi256EaiaLNS_25InMemoryDataOperationEnumE0ENS_16TensorDescriptorINS_5TupleIJNS_5EmbedINS4_IJiiEEENS4_IJNS_17integral_constantIiLi1EEEiEEELb0EEENS_7UnMergeINS4_IJiNS7_IiLi4EEEEEELb0EEENS_11PassThroughIiEEEEENS4_IJNS_8SequenceIJLi0EEEENSI_IJLi2EEEENSI_IJLi1EEEEEEENS4_IJNSI_IJLi1ELi2EEEENSI_IJLi3ELi4EEEENSI_IJLi5EEEEEEENSI_IJLi3ELi5ELi4EEEElEENS3_INS4_IJNS5_IS6_NS4_IJiS8_EEELb0EEESE_SG_EEENS4_IJSJ_SL_SK_EEESQ_SR_lEENS3_INS4_IJSU_SG_SG_EEESW_NS4_IJSN_NSI_IJLi3EEEENSI_IJLi4EEEEEEESO_lEELi128ELi128ELi16ELi4ELi4ELi4ELi1ENSI_IJLi8ELi2EEEES13_NSI_IJLi2ELi1ELi4ELi4EEEENSI_IJLi8ELi1ELi32ELi1EEEENSI_IJLi0ELi3ELi1ELi2EEEES16_NSI_IJLi1ELi1ELi4ELi1EEEES16_NSI_IJLi1ELi1ELi4ELi4EEEES14_S15_S16_S16_S17_S16_S18_NSI_IJLi0ELi1ELi2ELi3ELi4ELi5EEEELi5ELi4EEEaaNS3_INS4_IJSA_SE_SG_SG_NSB_INS4_IJiNS7_IiLi128EEEEEELb0EEENSF_ISC_EEEEENS4_IJSJ_SK_SL_SZ_SP_S10_EEENS4_IJSN_SO_SP_NSI_IJLi6EEEENSI_IJLi7ELi8EEEENSI_IJLi9EEEEEEENSI_IJLi6ELi7ELi8ELi9EEEElEENS3_INS4_IJSU_SE_SG_SG_S1D_S1E_EEENS4_IJSJ_SL_SK_SZ_SP_S10_EEES1K_S1L_lEENS3_INS4_IJSU_SG_SG_NSB_INS4_IJiNS7_IiLi2EEENS7_IiLi64EEEEEELb0EEES1T_EEENS4_IJSJ_SL_SK_SZ_S10_EEENS4_IJSN_SZ_S10_NSI_IJLi5ELi6ELi7EEEENSI_IJLi8ELi9ELi10EEEEEEENSI_IJLi5ELi6ELi7ELi8ELi9ELi10EEEElEENS_31BlockToCTileMap_M00_N00_M01_N01ILi128ELi128ES12_Lb0EEELb1ELb0EEEvPKT0_S25_PT1_T2_T3_T4_T5_: ; @_ZN2ck19kernel_gemm_dl_v1r3INS_28GridwiseGemmDl_km_kn_mn_v1r3ILi256EaiaLNS_25InMemoryDataOperationEnumE0ENS_16TensorDescriptorINS_5TupleIJNS_5EmbedINS4_IJiiEEENS4_IJNS_17integral_constantIiLi1EEEiEEELb0EEENS_7UnMergeINS4_IJiNS7_IiLi4EEEEEELb0EEENS_11PassThroughIiEEEEENS4_IJNS_8SequenceIJLi0EEEENSI_IJLi2EEEENSI_IJLi1EEEEEEENS4_IJNSI_IJLi1ELi2EEEENSI_IJLi3ELi4EEEENSI_IJLi5EEEEEEENSI_IJLi3ELi5ELi4EEEElEENS3_INS4_IJNS5_IS6_NS4_IJiS8_EEELb0EEESE_SG_EEENS4_IJSJ_SL_SK_EEESQ_SR_lEENS3_INS4_IJSU_SG_SG_EEESW_NS4_IJSN_NSI_IJLi3EEEENSI_IJLi4EEEEEEESO_lEELi128ELi128ELi16ELi4ELi4ELi4ELi1ENSI_IJLi8ELi2EEEES13_NSI_IJLi2ELi1ELi4ELi4EEEENSI_IJLi8ELi1ELi32ELi1EEEENSI_IJLi0ELi3ELi1ELi2EEEES16_NSI_IJLi1ELi1ELi4ELi1EEEES16_NSI_IJLi1ELi1ELi4ELi4EEEES14_S15_S16_S16_S17_S16_S18_NSI_IJLi0ELi1ELi2ELi3ELi4ELi5EEEELi5ELi4EEEaaNS3_INS4_IJSA_SE_SG_SG_NSB_INS4_IJiNS7_IiLi128EEEEEELb0EEENSF_ISC_EEEEENS4_IJSJ_SK_SL_SZ_SP_S10_EEENS4_IJSN_SO_SP_NSI_IJLi6EEEENSI_IJLi7ELi8EEEENSI_IJLi9EEEEEEENSI_IJLi6ELi7ELi8ELi9EEEElEENS3_INS4_IJSU_SE_SG_SG_S1D_S1E_EEENS4_IJSJ_SL_SK_SZ_SP_S10_EEES1K_S1L_lEENS3_INS4_IJSU_SG_SG_NSB_INS4_IJiNS7_IiLi2EEENS7_IiLi64EEEEEELb0EEES1T_EEENS4_IJSJ_SL_SK_SZ_S10_EEENS4_IJSN_SZ_S10_NSI_IJLi5ELi6ELi7EEEENSI_IJLi8ELi9ELi10EEEEEEENSI_IJLi5ELi6ELi7ELi8ELi9ELi10EEEElEENS_31BlockToCTileMap_M00_N00_M01_N01ILi128ELi128ES12_Lb0EEELb1ELb0EEEvPKT0_S25_PT1_T2_T3_T4_T5_
; %bb.0:
	s_load_dwordx4 s[24:27], s[0:1], 0x0
	s_load_dwordx2 s[12:13], s[0:1], 0x10
	s_load_dwordx8 s[4:11], s[0:1], 0x10c
	s_load_dword s20, s[0:1], 0x24
	s_waitcnt lgkmcnt(0)
	s_load_dword s7, s[0:1], 0x38
	s_load_dword s18, s[0:1], 0x50
	;; [unrolled: 1-line block ×5, first 2 shown]
	s_load_dwordx2 s[14:15], s[0:1], 0xd0
	s_load_dword s5, s[0:1], 0xec
	s_load_dwordx4 s[28:31], s[0:1], 0x130
	s_waitcnt lgkmcnt(0)
	s_load_dword s15, s[0:1], 0xfc
	s_load_dwordx4 s[36:39], s[0:1], 0x108
	v_lshrrev_b32_e32 v1, 4, v0
	s_mul_hi_u32 s11, s11, s2
	s_add_i32 s11, s2, s11
	s_lshr_b32 s1, s11, s31
	s_mul_hi_u32 s0, s1, s10
	s_add_i32 s0, s1, s0
	s_lshr_b32 s10, s0, s30
	s_mul_hi_u32 s0, s10, s9
	s_add_i32 s0, s10, s0
	s_lshr_b32 s0, s0, s29
	s_mul_i32 s9, s0, s4
	s_mul_hi_u32 s4, s0, s8
	s_add_i32 s4, s0, s4
	s_lshr_b32 s4, s4, s28
	s_waitcnt lgkmcnt(0)
	s_mul_i32 s4, s4, s36
	s_mul_i32 s8, s10, s38
	s_sub_i32 s0, s0, s4
	s_sub_i32 s4, s1, s8
	s_mul_i32 s0, s0, s5
	s_add_i32 s4, s4, s0
	v_lshlrev_b32_e32 v4, 2, v0
	v_and_b32_e32 v1, 14, v1
	v_and_b32_e32 v88, 0x7c, v4
	s_lshl_b32 s0, s4, 7
	v_or_b32_e32 v2, s0, v88
	v_lshlrev_b32_e32 v5, 2, v1
	v_mad_u64_u32 v[2:3], s[4:5], s20, v5, v[2:3]
	s_and_b32 s25, s25, 0xffff
	v_add_u32_e32 v3, s20, v2
	s_mov_b32 s19, 0x20000
	s_mov_b32 s16, s24
	;; [unrolled: 1-line block ×3, first 2 shown]
	v_add_u32_e32 v6, s20, v3
	v_add_u32_e32 v7, s20, v6
	buffer_load_dword v8, v2, s[16:19], 0 offen
	buffer_load_dword v9, v3, s[16:19], 0 offen
	;; [unrolled: 1-line block ×4, first 2 shown]
	s_mul_i32 s1, s1, s6
	s_sub_i32 s4, s10, s9
	s_sub_i32 s1, s2, s1
	s_lshl_b32 s2, s20, 2
	s_mul_i32 s4, s4, s15
	v_add_u32_e32 v7, s2, v7
	s_add_i32 s1, s1, s4
	v_add_u32_e32 v6, s2, v6
	v_add_u32_e32 v3, s2, v3
	;; [unrolled: 1-line block ×3, first 2 shown]
	buffer_load_dword v12, v7, s[16:19], 0 offen
	buffer_load_dword v13, v6, s[16:19], 0 offen
	;; [unrolled: 1-line block ×4, first 2 shown]
	s_lshl_b32 s1, s1, 7
	v_mul_lo_u32 v2, s21, v5
	v_add3_u32 v2, v2, v88, s1
	s_and_b32 s27, s27, 0xffff
	v_add_u32_e32 v3, s21, v2
	s_mov_b32 s8, s26
	s_mov_b32 s9, s27
	;; [unrolled: 1-line block ×4, first 2 shown]
	v_add_u32_e32 v6, s21, v3
	v_add_u32_e32 v7, s21, v6
	buffer_load_dword v16, v2, s[8:11], 0 offen
	buffer_load_dword v17, v3, s[8:11], 0 offen
	;; [unrolled: 1-line block ×4, first 2 shown]
	s_lshl_b32 s2, s21, 2
	v_add_u32_e32 v7, s2, v7
	v_add_u32_e32 v6, s2, v6
	;; [unrolled: 1-line block ×4, first 2 shown]
	buffer_load_dword v22, v7, s[8:11], 0 offen
	buffer_load_dword v23, v3, s[8:11], 0 offen
	;; [unrolled: 1-line block ×4, first 2 shown]
	v_lshlrev_b32_e32 v2, 2, v88
	v_lshl_or_b32 v89, v1, 9, v2
	v_lshrrev_b32_e32 v1, 5, v0
	v_lshlrev_b32_e32 v0, 1, v0
	v_lshlrev_b32_e32 v2, 6, v1
	v_and_b32_e32 v3, 0x1f8, v0
	v_lshlrev_b32_e32 v1, 3, v1
	s_mov_b32 s2, 0xc0c0004
	v_sub_u32_e32 v2, v3, v2
	v_and_or_b32 v21, v0, 4, v1
	s_mov_b32 s4, 0xc0c0105
	v_and_or_b32 v20, v4, 4, v2
	s_mov_b32 s5, 0xc0c0206
	s_mov_b32 s6, 0xc0c0307
	v_lshlrev_b32_e32 v53, 2, v21
	v_lshlrev_b32_e32 v54, 2, v20
	s_mov_b32 s23, s19
	s_sub_i32 s7, s7, 32
	s_lshl_b32 s8, s21, 7
	s_lshl_b32 s9, s20, 7
	v_mov_b32_e32 v44, 0
	v_mov_b32_e32 v48, 0
	;; [unrolled: 1-line block ×28, first 2 shown]
	s_waitcnt vmcnt(14)
	v_perm_b32 v0, v8, v9, s2
	v_mov_b32_e32 v59, 0
	s_waitcnt vmcnt(12)
	v_perm_b32 v1, v10, v11, s2
	v_lshl_or_b32 v0, v1, 16, v0
	v_perm_b32 v1, v8, v9, s4
	v_perm_b32 v2, v10, v11, s4
	v_lshl_or_b32 v1, v2, 16, v1
	v_perm_b32 v2, v8, v9, s5
	v_perm_b32 v3, v10, v11, s5
	v_lshl_or_b32 v2, v3, 16, v2
	v_perm_b32 v3, v8, v9, s6
	v_perm_b32 v4, v10, v11, s6
	v_lshl_or_b32 v3, v4, 16, v3
	ds_write_b128 v89, v[0:3]
	s_waitcnt vmcnt(8)
	v_perm_b32 v0, v15, v14, s2
	v_perm_b32 v1, v13, v12, s2
	v_lshl_or_b32 v0, v1, 16, v0
	v_perm_b32 v1, v15, v14, s4
	v_perm_b32 v2, v13, v12, s4
	v_lshl_or_b32 v1, v2, 16, v1
	;; [unrolled: 3-line block ×4, first 2 shown]
	ds_write_b128 v89, v[0:3] offset:512
	s_waitcnt vmcnt(6)
	v_perm_b32 v0, v16, v17, s2
	s_waitcnt vmcnt(4)
	v_perm_b32 v1, v18, v19, s2
	v_lshl_or_b32 v0, v1, 16, v0
	v_perm_b32 v1, v16, v17, s4
	v_perm_b32 v2, v18, v19, s4
	v_lshl_or_b32 v1, v2, 16, v1
	v_perm_b32 v2, v16, v17, s5
	v_perm_b32 v3, v18, v19, s5
	v_lshl_or_b32 v2, v3, 16, v2
	v_perm_b32 v3, v16, v17, s6
	v_perm_b32 v4, v18, v19, s6
	v_lshl_or_b32 v3, v4, 16, v3
	ds_write_b128 v89, v[0:3] offset:16384
	s_waitcnt vmcnt(1)
	v_perm_b32 v0, v24, v23, s2
	s_waitcnt vmcnt(0)
	v_perm_b32 v1, v25, v22, s2
	v_lshl_or_b32 v0, v1, 16, v0
	v_perm_b32 v1, v24, v23, s4
	v_perm_b32 v2, v25, v22, s4
	v_lshl_or_b32 v1, v2, 16, v1
	v_perm_b32 v2, v24, v23, s5
	;; [unrolled: 3-line block ×3, first 2 shown]
	v_perm_b32 v4, v25, v22, s6
	v_lshl_or_b32 v3, v4, 16, v3
	ds_write_b128 v89, v[0:3] offset:16896
	v_or_b32_e32 v0, 0x84, v5
	v_mul_lo_u32 v1, s21, v0
	v_add_u32_e32 v90, s1, v1
	v_or_b32_e32 v1, 0x85, v5
	v_mul_lo_u32 v2, s21, v1
	v_add_u32_e32 v91, s1, v2
	;; [unrolled: 3-line block ×7, first 2 shown]
	v_or_b32_e32 v8, 0x80, v5
	v_mul_lo_u32 v9, s21, v8
	v_mul_lo_u32 v0, s20, v0
	v_add_u32_e32 v97, s1, v9
	v_or_b32_e32 v9, 0x44, v5
	v_add_u32_e32 v106, s0, v0
	v_mul_lo_u32 v0, s20, v1
	v_mul_lo_u32 v10, s21, v9
	v_add_u32_e32 v107, s0, v0
	v_mul_lo_u32 v0, s20, v2
	v_add_u32_e32 v98, s1, v10
	v_or_b32_e32 v10, 0x45, v5
	v_add_u32_e32 v108, s0, v0
	v_mul_lo_u32 v0, s20, v3
	v_mul_lo_u32 v11, s21, v10
	v_add_u32_e32 v109, s0, v0
	;; [unrolled: 7-line block ×6, first 2 shown]
	v_mul_lo_u32 v0, s20, v13
	v_add_u32_e32 v103, s1, v15
	v_or_b32_e32 v15, 0x41, v5
	v_add_u32_e32 v118, s0, v0
	v_mul_lo_u32 v0, s20, v14
	v_mul_lo_u32 v16, s21, v15
	v_or_b32_e32 v5, 64, v5
	v_add_u32_e32 v119, s0, v0
	v_mul_lo_u32 v0, s20, v15
	v_add_u32_e32 v104, s1, v16
	v_mul_lo_u32 v16, s21, v5
	;; [unrolled: 2-line block ×3, first 2 shown]
	v_add_u32_e32 v105, s1, v16
	v_add_u32_e32 v121, s0, v0
	v_mov_b32_e32 v22, 0
	s_mov_b32 s20, s26
	s_mov_b32 s21, s27
	v_mov_b32_e32 v24, 0
	v_mov_b32_e32 v23, 0
	;; [unrolled: 1-line block ×35, first 2 shown]
.LBB2_1:                                ; =>This Inner Loop Header: Depth=1
	v_add_u32_e32 v1, v88, v121
	v_add_u32_e32 v2, v88, v105
	;; [unrolled: 1-line block ×16, first 2 shown]
	buffer_load_dword v14, v1, s[16:19], 0 offen
	buffer_load_dword v15, v3, s[16:19], 0 offen
	;; [unrolled: 1-line block ×9, first 2 shown]
                                        ; kill: killed $vgpr3
                                        ; kill: killed $vgpr17
                                        ; kill: killed $vgpr1
                                        ; kill: killed $vgpr16
                                        ; kill: killed $vgpr7
                                        ; kill: killed $vgpr6
                                        ; kill: killed $vgpr2
                                        ; kill: killed $vgpr5
                                        ; kill: killed $vgpr4
	s_nop 0
	buffer_load_dword v7, v18, s[20:23], 0 offen
	buffer_load_dword v1, v19, s[20:23], 0 offen
	;; [unrolled: 1-line block ×7, first 2 shown]
	s_waitcnt lgkmcnt(0)
	s_barrier
	ds_read_b128 v[16:19], v53
	ds_read_b128 v[124:127], v54 offset:16384
	ds_read_b128 v[128:131], v54 offset:16640
	;; [unrolled: 1-line block ×3, first 2 shown]
	v_add_u32_e32 v136, v88, v92
	v_add_u32_e32 v137, v88, v90
	s_waitcnt lgkmcnt(2)
	v_dot4c_i32_i8_e32 v85, v16, v124
	v_dot4c_i32_i8_e32 v87, v16, v125
	v_dot4c_i32_i8_e32 v86, v16, v126
	v_dot4c_i32_i8_e32 v84, v16, v127
	v_dot4c_i32_i8_e32 v75, v17, v124
	v_dot4c_i32_i8_e32 v78, v17, v125
	v_dot4c_i32_i8_e32 v74, v17, v126
	v_dot4c_i32_i8_e32 v72, v17, v127
	v_dot4c_i32_i8_e32 v70, v18, v124
	v_dot4c_i32_i8_e32 v71, v18, v125
	v_dot4c_i32_i8_e32 v69, v18, v126
	v_dot4c_i32_i8_e32 v68, v18, v127
	v_dot4c_i32_i8_e32 v58, v19, v124
	v_dot4c_i32_i8_e32 v60, v19, v125
	v_dot4c_i32_i8_e32 v57, v19, v126
	v_dot4c_i32_i8_e32 v56, v19, v127
	s_waitcnt lgkmcnt(1)
	v_dot4c_i32_i8_e32 v82, v16, v128
	v_dot4c_i32_i8_e32 v83, v16, v129
	v_dot4c_i32_i8_e32 v81, v16, v130
	v_dot4c_i32_i8_e32 v80, v16, v131
	v_dot4c_i32_i8_e32 v77, v17, v128
	v_dot4c_i32_i8_e32 v79, v17, v129
	v_dot4c_i32_i8_e32 v76, v17, v130
	v_dot4c_i32_i8_e32 v73, v17, v131
	v_dot4c_i32_i8_e32 v66, v18, v128
	v_dot4c_i32_i8_e32 v67, v18, v129
	v_dot4c_i32_i8_e32 v65, v18, v130
	v_dot4c_i32_i8_e32 v64, v18, v131
	v_dot4c_i32_i8_e32 v62, v19, v128
	v_dot4c_i32_i8_e32 v63, v19, v129
	v_dot4c_i32_i8_e32 v61, v19, v130
	v_dot4c_i32_i8_e32 v59, v19, v131
	;; [unrolled: 17-line block ×3, first 2 shown]
	v_dot4c_i32_i8_e32 v29, v132, v128
	v_dot4c_i32_i8_e32 v33, v132, v129
	;; [unrolled: 1-line block ×16, first 2 shown]
	ds_read_b128 v[16:19], v53 offset:512
	ds_read_b128 v[124:127], v54 offset:16896
	;; [unrolled: 1-line block ×4, first 2 shown]
	s_waitcnt vmcnt(12)
	v_perm_b32 v123, v12, v13, s4
	v_add_u32_e32 v122, 32, v122
	s_waitcnt lgkmcnt(2)
	v_dot4c_i32_i8_e32 v85, v16, v124
	v_dot4c_i32_i8_e32 v87, v16, v125
	v_dot4c_i32_i8_e32 v86, v16, v126
	v_dot4c_i32_i8_e32 v84, v16, v127
	v_dot4c_i32_i8_e32 v75, v17, v124
	v_dot4c_i32_i8_e32 v78, v17, v125
	v_dot4c_i32_i8_e32 v74, v17, v126
	v_dot4c_i32_i8_e32 v72, v17, v127
	v_dot4c_i32_i8_e32 v70, v18, v124
	v_dot4c_i32_i8_e32 v71, v18, v125
	v_dot4c_i32_i8_e32 v69, v18, v126
	v_dot4c_i32_i8_e32 v68, v18, v127
	v_dot4c_i32_i8_e32 v58, v19, v124
	v_dot4c_i32_i8_e32 v60, v19, v125
	v_dot4c_i32_i8_e32 v57, v19, v126
	v_dot4c_i32_i8_e32 v56, v19, v127
	s_waitcnt lgkmcnt(1)
	v_dot4c_i32_i8_e32 v82, v16, v128
	v_dot4c_i32_i8_e32 v83, v16, v129
	v_dot4c_i32_i8_e32 v81, v16, v130
	v_dot4c_i32_i8_e32 v80, v16, v131
	v_dot4c_i32_i8_e32 v77, v17, v128
	v_dot4c_i32_i8_e32 v79, v17, v129
	v_dot4c_i32_i8_e32 v76, v17, v130
	v_dot4c_i32_i8_e32 v73, v17, v131
	v_dot4c_i32_i8_e32 v66, v18, v128
	v_dot4c_i32_i8_e32 v67, v18, v129
	v_dot4c_i32_i8_e32 v65, v18, v130
	v_dot4c_i32_i8_e32 v64, v18, v131
	v_dot4c_i32_i8_e32 v62, v19, v128
	v_dot4c_i32_i8_e32 v63, v19, v129
	v_dot4c_i32_i8_e32 v61, v19, v130
	v_dot4c_i32_i8_e32 v59, v19, v131
	;; [unrolled: 17-line block ×3, first 2 shown]
	v_dot4c_i32_i8_e32 v29, v132, v128
	v_dot4c_i32_i8_e32 v33, v132, v129
	;; [unrolled: 1-line block ×16, first 2 shown]
	ds_read_b128 v[16:19], v53 offset:1024
	ds_read_b128 v[124:127], v54 offset:17408
	;; [unrolled: 1-line block ×4, first 2 shown]
	v_cmp_gt_i32_e32 vcc, s7, v122
	v_add_u32_e32 v90, s8, v90
	s_waitcnt lgkmcnt(2)
	v_dot4c_i32_i8_e32 v85, v16, v124
	v_dot4c_i32_i8_e32 v87, v16, v125
	v_dot4c_i32_i8_e32 v86, v16, v126
	v_dot4c_i32_i8_e32 v84, v16, v127
	v_dot4c_i32_i8_e32 v75, v17, v124
	v_dot4c_i32_i8_e32 v78, v17, v125
	v_dot4c_i32_i8_e32 v74, v17, v126
	v_dot4c_i32_i8_e32 v72, v17, v127
	v_dot4c_i32_i8_e32 v70, v18, v124
	v_dot4c_i32_i8_e32 v71, v18, v125
	v_dot4c_i32_i8_e32 v69, v18, v126
	v_dot4c_i32_i8_e32 v68, v18, v127
	v_dot4c_i32_i8_e32 v58, v19, v124
	v_dot4c_i32_i8_e32 v60, v19, v125
	v_dot4c_i32_i8_e32 v57, v19, v126
	v_dot4c_i32_i8_e32 v56, v19, v127
	s_waitcnt lgkmcnt(1)
	v_dot4c_i32_i8_e32 v82, v16, v128
	v_dot4c_i32_i8_e32 v83, v16, v129
	v_dot4c_i32_i8_e32 v81, v16, v130
	v_dot4c_i32_i8_e32 v80, v16, v131
	v_dot4c_i32_i8_e32 v77, v17, v128
	v_dot4c_i32_i8_e32 v79, v17, v129
	v_dot4c_i32_i8_e32 v76, v17, v130
	v_dot4c_i32_i8_e32 v73, v17, v131
	v_dot4c_i32_i8_e32 v66, v18, v128
	v_dot4c_i32_i8_e32 v67, v18, v129
	v_dot4c_i32_i8_e32 v65, v18, v130
	v_dot4c_i32_i8_e32 v64, v18, v131
	v_dot4c_i32_i8_e32 v62, v19, v128
	v_dot4c_i32_i8_e32 v63, v19, v129
	v_dot4c_i32_i8_e32 v61, v19, v130
	v_dot4c_i32_i8_e32 v59, v19, v131
	s_waitcnt lgkmcnt(0)
	v_dot4c_i32_i8_e32 v26, v132, v124
	v_dot4c_i32_i8_e32 v30, v132, v125
	v_dot4c_i32_i8_e32 v25, v132, v126
	v_dot4c_i32_i8_e32 v23, v132, v127
	v_dot4c_i32_i8_e32 v40, v133, v124
	v_dot4c_i32_i8_e32 v43, v133, v125
	v_dot4c_i32_i8_e32 v39, v133, v126
	v_dot4c_i32_i8_e32 v36, v133, v127
	v_dot4c_i32_i8_e32 v38, v134, v124
	v_dot4c_i32_i8_e32 v42, v134, v125
	v_dot4c_i32_i8_e32 v37, v134, v126
	v_dot4c_i32_i8_e32 v35, v134, v127
	v_dot4c_i32_i8_e32 v52, v135, v124
	v_dot4c_i32_i8_e32 v55, v135, v125
	v_dot4c_i32_i8_e32 v51, v135, v126
	v_dot4c_i32_i8_e32 v50, v135, v127
	v_dot4c_i32_i8_e32 v29, v132, v128
	v_dot4c_i32_i8_e32 v33, v132, v129
	;; [unrolled: 1-line block ×16, first 2 shown]
	ds_read_b128 v[16:19], v53 offset:1536
	ds_read_b128 v[124:127], v54 offset:17920
	;; [unrolled: 1-line block ×4, first 2 shown]
	v_add_u32_e32 v92, s8, v92
	v_add_u32_e32 v98, s8, v98
	s_waitcnt lgkmcnt(2)
	v_dot4c_i32_i8_e32 v85, v16, v124
	v_dot4c_i32_i8_e32 v87, v16, v125
	v_dot4c_i32_i8_e32 v86, v16, v126
	v_dot4c_i32_i8_e32 v84, v16, v127
	v_dot4c_i32_i8_e32 v75, v17, v124
	v_dot4c_i32_i8_e32 v78, v17, v125
	v_dot4c_i32_i8_e32 v74, v17, v126
	v_dot4c_i32_i8_e32 v72, v17, v127
	v_dot4c_i32_i8_e32 v70, v18, v124
	v_dot4c_i32_i8_e32 v71, v18, v125
	v_dot4c_i32_i8_e32 v69, v18, v126
	v_dot4c_i32_i8_e32 v68, v18, v127
	v_dot4c_i32_i8_e32 v58, v19, v124
	v_dot4c_i32_i8_e32 v60, v19, v125
	v_dot4c_i32_i8_e32 v57, v19, v126
	v_dot4c_i32_i8_e32 v56, v19, v127
	s_waitcnt lgkmcnt(1)
	v_dot4c_i32_i8_e32 v82, v16, v128
	v_dot4c_i32_i8_e32 v83, v16, v129
	v_dot4c_i32_i8_e32 v81, v16, v130
	v_dot4c_i32_i8_e32 v80, v16, v131
	v_dot4c_i32_i8_e32 v77, v17, v128
	v_dot4c_i32_i8_e32 v79, v17, v129
	v_dot4c_i32_i8_e32 v76, v17, v130
	v_dot4c_i32_i8_e32 v73, v17, v131
	v_dot4c_i32_i8_e32 v66, v18, v128
	v_dot4c_i32_i8_e32 v67, v18, v129
	v_dot4c_i32_i8_e32 v65, v18, v130
	v_dot4c_i32_i8_e32 v64, v18, v131
	v_dot4c_i32_i8_e32 v62, v19, v128
	v_dot4c_i32_i8_e32 v63, v19, v129
	v_dot4c_i32_i8_e32 v61, v19, v130
	v_dot4c_i32_i8_e32 v59, v19, v131
	;; [unrolled: 17-line block ×3, first 2 shown]
	v_dot4c_i32_i8_e32 v29, v132, v128
	v_dot4c_i32_i8_e32 v33, v132, v129
	;; [unrolled: 1-line block ×16, first 2 shown]
	ds_read_b128 v[16:19], v53 offset:2048
	ds_read_b128 v[124:127], v54 offset:18432
	;; [unrolled: 1-line block ×4, first 2 shown]
	v_add_u32_e32 v99, s8, v99
	v_add_u32_e32 v100, s8, v100
	s_waitcnt lgkmcnt(2)
	v_dot4c_i32_i8_e32 v85, v16, v124
	v_dot4c_i32_i8_e32 v87, v16, v125
	v_dot4c_i32_i8_e32 v86, v16, v126
	v_dot4c_i32_i8_e32 v84, v16, v127
	v_dot4c_i32_i8_e32 v75, v17, v124
	v_dot4c_i32_i8_e32 v78, v17, v125
	v_dot4c_i32_i8_e32 v74, v17, v126
	v_dot4c_i32_i8_e32 v72, v17, v127
	v_dot4c_i32_i8_e32 v70, v18, v124
	v_dot4c_i32_i8_e32 v71, v18, v125
	v_dot4c_i32_i8_e32 v69, v18, v126
	v_dot4c_i32_i8_e32 v68, v18, v127
	v_dot4c_i32_i8_e32 v58, v19, v124
	v_dot4c_i32_i8_e32 v60, v19, v125
	v_dot4c_i32_i8_e32 v57, v19, v126
	v_dot4c_i32_i8_e32 v56, v19, v127
	s_waitcnt lgkmcnt(1)
	v_dot4c_i32_i8_e32 v82, v16, v128
	v_dot4c_i32_i8_e32 v83, v16, v129
	v_dot4c_i32_i8_e32 v81, v16, v130
	v_dot4c_i32_i8_e32 v80, v16, v131
	v_dot4c_i32_i8_e32 v77, v17, v128
	v_dot4c_i32_i8_e32 v79, v17, v129
	v_dot4c_i32_i8_e32 v76, v17, v130
	v_dot4c_i32_i8_e32 v73, v17, v131
	v_dot4c_i32_i8_e32 v66, v18, v128
	v_dot4c_i32_i8_e32 v67, v18, v129
	v_dot4c_i32_i8_e32 v65, v18, v130
	v_dot4c_i32_i8_e32 v64, v18, v131
	v_dot4c_i32_i8_e32 v62, v19, v128
	v_dot4c_i32_i8_e32 v63, v19, v129
	v_dot4c_i32_i8_e32 v61, v19, v130
	v_dot4c_i32_i8_e32 v59, v19, v131
	;; [unrolled: 17-line block ×3, first 2 shown]
	v_dot4c_i32_i8_e32 v29, v132, v128
	v_dot4c_i32_i8_e32 v33, v132, v129
	;; [unrolled: 1-line block ×16, first 2 shown]
	ds_read_b128 v[16:19], v53 offset:2560
	ds_read_b128 v[124:127], v54 offset:18944
	;; [unrolled: 1-line block ×4, first 2 shown]
	v_add_u32_e32 v101, s8, v101
	v_add_u32_e32 v102, s8, v102
	s_waitcnt lgkmcnt(2)
	v_dot4c_i32_i8_e32 v85, v16, v124
	v_dot4c_i32_i8_e32 v87, v16, v125
	v_dot4c_i32_i8_e32 v86, v16, v126
	v_dot4c_i32_i8_e32 v84, v16, v127
	v_dot4c_i32_i8_e32 v75, v17, v124
	v_dot4c_i32_i8_e32 v78, v17, v125
	v_dot4c_i32_i8_e32 v74, v17, v126
	v_dot4c_i32_i8_e32 v72, v17, v127
	v_dot4c_i32_i8_e32 v70, v18, v124
	v_dot4c_i32_i8_e32 v71, v18, v125
	v_dot4c_i32_i8_e32 v69, v18, v126
	v_dot4c_i32_i8_e32 v68, v18, v127
	v_dot4c_i32_i8_e32 v58, v19, v124
	v_dot4c_i32_i8_e32 v60, v19, v125
	v_dot4c_i32_i8_e32 v57, v19, v126
	v_dot4c_i32_i8_e32 v56, v19, v127
	s_waitcnt lgkmcnt(1)
	v_dot4c_i32_i8_e32 v82, v16, v128
	v_dot4c_i32_i8_e32 v83, v16, v129
	v_dot4c_i32_i8_e32 v81, v16, v130
	v_dot4c_i32_i8_e32 v80, v16, v131
	v_dot4c_i32_i8_e32 v77, v17, v128
	v_dot4c_i32_i8_e32 v79, v17, v129
	v_dot4c_i32_i8_e32 v76, v17, v130
	v_dot4c_i32_i8_e32 v73, v17, v131
	v_dot4c_i32_i8_e32 v66, v18, v128
	v_dot4c_i32_i8_e32 v67, v18, v129
	v_dot4c_i32_i8_e32 v65, v18, v130
	v_dot4c_i32_i8_e32 v64, v18, v131
	v_dot4c_i32_i8_e32 v62, v19, v128
	v_dot4c_i32_i8_e32 v63, v19, v129
	v_dot4c_i32_i8_e32 v61, v19, v130
	v_dot4c_i32_i8_e32 v59, v19, v131
	;; [unrolled: 17-line block ×3, first 2 shown]
	v_dot4c_i32_i8_e32 v29, v132, v128
	v_dot4c_i32_i8_e32 v33, v132, v129
	;; [unrolled: 1-line block ×16, first 2 shown]
	ds_read_b128 v[16:19], v53 offset:3072
	ds_read_b128 v[124:127], v54 offset:19456
	;; [unrolled: 1-line block ×4, first 2 shown]
	v_add_u32_e32 v103, s8, v103
	v_add_u32_e32 v104, s8, v104
	s_waitcnt lgkmcnt(2)
	v_dot4c_i32_i8_e32 v85, v16, v124
	v_dot4c_i32_i8_e32 v87, v16, v125
	v_dot4c_i32_i8_e32 v86, v16, v126
	v_dot4c_i32_i8_e32 v84, v16, v127
	v_dot4c_i32_i8_e32 v75, v17, v124
	v_dot4c_i32_i8_e32 v78, v17, v125
	v_dot4c_i32_i8_e32 v74, v17, v126
	v_dot4c_i32_i8_e32 v72, v17, v127
	v_dot4c_i32_i8_e32 v70, v18, v124
	v_dot4c_i32_i8_e32 v71, v18, v125
	v_dot4c_i32_i8_e32 v69, v18, v126
	v_dot4c_i32_i8_e32 v68, v18, v127
	v_dot4c_i32_i8_e32 v58, v19, v124
	v_dot4c_i32_i8_e32 v60, v19, v125
	v_dot4c_i32_i8_e32 v57, v19, v126
	v_dot4c_i32_i8_e32 v56, v19, v127
	s_waitcnt lgkmcnt(1)
	v_dot4c_i32_i8_e32 v82, v16, v128
	v_dot4c_i32_i8_e32 v83, v16, v129
	v_dot4c_i32_i8_e32 v81, v16, v130
	v_dot4c_i32_i8_e32 v80, v16, v131
	v_dot4c_i32_i8_e32 v77, v17, v128
	v_dot4c_i32_i8_e32 v79, v17, v129
	v_dot4c_i32_i8_e32 v76, v17, v130
	v_dot4c_i32_i8_e32 v73, v17, v131
	v_dot4c_i32_i8_e32 v66, v18, v128
	v_dot4c_i32_i8_e32 v67, v18, v129
	v_dot4c_i32_i8_e32 v65, v18, v130
	v_dot4c_i32_i8_e32 v64, v18, v131
	v_dot4c_i32_i8_e32 v62, v19, v128
	v_dot4c_i32_i8_e32 v63, v19, v129
	v_dot4c_i32_i8_e32 v61, v19, v130
	v_dot4c_i32_i8_e32 v59, v19, v131
	;; [unrolled: 17-line block ×3, first 2 shown]
	v_dot4c_i32_i8_e32 v29, v132, v128
	v_dot4c_i32_i8_e32 v33, v132, v129
	;; [unrolled: 1-line block ×16, first 2 shown]
	ds_read_b128 v[16:19], v53 offset:3584
	ds_read_b128 v[124:127], v54 offset:19968
	;; [unrolled: 1-line block ×4, first 2 shown]
	v_add_u32_e32 v105, s8, v105
	v_add_u32_e32 v114, s9, v114
	s_waitcnt lgkmcnt(2)
	v_dot4c_i32_i8_e32 v85, v16, v124
	v_dot4c_i32_i8_e32 v87, v16, v125
	v_dot4c_i32_i8_e32 v86, v16, v126
	v_dot4c_i32_i8_e32 v84, v16, v127
	v_dot4c_i32_i8_e32 v75, v17, v124
	v_dot4c_i32_i8_e32 v78, v17, v125
	v_dot4c_i32_i8_e32 v74, v17, v126
	v_dot4c_i32_i8_e32 v72, v17, v127
	v_dot4c_i32_i8_e32 v70, v18, v124
	v_dot4c_i32_i8_e32 v71, v18, v125
	v_dot4c_i32_i8_e32 v69, v18, v126
	v_dot4c_i32_i8_e32 v68, v18, v127
	v_dot4c_i32_i8_e32 v58, v19, v124
	v_dot4c_i32_i8_e32 v60, v19, v125
	v_dot4c_i32_i8_e32 v57, v19, v126
	v_dot4c_i32_i8_e32 v56, v19, v127
	s_waitcnt lgkmcnt(1)
	v_dot4c_i32_i8_e32 v82, v16, v128
	v_dot4c_i32_i8_e32 v83, v16, v129
	v_dot4c_i32_i8_e32 v81, v16, v130
	v_dot4c_i32_i8_e32 v80, v16, v131
	v_dot4c_i32_i8_e32 v77, v17, v128
	v_dot4c_i32_i8_e32 v79, v17, v129
	v_dot4c_i32_i8_e32 v76, v17, v130
	v_dot4c_i32_i8_e32 v73, v17, v131
	v_dot4c_i32_i8_e32 v66, v18, v128
	v_dot4c_i32_i8_e32 v67, v18, v129
	v_dot4c_i32_i8_e32 v65, v18, v130
	v_dot4c_i32_i8_e32 v64, v18, v131
	v_dot4c_i32_i8_e32 v62, v19, v128
	v_dot4c_i32_i8_e32 v63, v19, v129
	v_dot4c_i32_i8_e32 v61, v19, v130
	v_dot4c_i32_i8_e32 v59, v19, v131
	s_waitcnt lgkmcnt(0)
	v_dot4c_i32_i8_e32 v26, v132, v124
	v_dot4c_i32_i8_e32 v30, v132, v125
	v_dot4c_i32_i8_e32 v25, v132, v126
	v_dot4c_i32_i8_e32 v23, v132, v127
	v_dot4c_i32_i8_e32 v40, v133, v124
	v_dot4c_i32_i8_e32 v43, v133, v125
	v_dot4c_i32_i8_e32 v39, v133, v126
	v_dot4c_i32_i8_e32 v36, v133, v127
	v_dot4c_i32_i8_e32 v38, v134, v124
	v_dot4c_i32_i8_e32 v42, v134, v125
	v_dot4c_i32_i8_e32 v37, v134, v126
	v_dot4c_i32_i8_e32 v35, v134, v127
	v_dot4c_i32_i8_e32 v52, v135, v124
	v_dot4c_i32_i8_e32 v55, v135, v125
	v_dot4c_i32_i8_e32 v51, v135, v126
	v_dot4c_i32_i8_e32 v50, v135, v127
	v_dot4c_i32_i8_e32 v29, v132, v128
	v_dot4c_i32_i8_e32 v33, v132, v129
	;; [unrolled: 1-line block ×16, first 2 shown]
	ds_read_b128 v[16:19], v53 offset:4096
	ds_read_b128 v[124:127], v54 offset:20480
	;; [unrolled: 1-line block ×4, first 2 shown]
	v_add_u32_e32 v115, s9, v115
	v_add_u32_e32 v116, s9, v116
	s_waitcnt lgkmcnt(2)
	v_dot4c_i32_i8_e32 v85, v16, v124
	v_dot4c_i32_i8_e32 v87, v16, v125
	v_dot4c_i32_i8_e32 v86, v16, v126
	v_dot4c_i32_i8_e32 v84, v16, v127
	v_dot4c_i32_i8_e32 v75, v17, v124
	v_dot4c_i32_i8_e32 v78, v17, v125
	v_dot4c_i32_i8_e32 v74, v17, v126
	v_dot4c_i32_i8_e32 v72, v17, v127
	v_dot4c_i32_i8_e32 v70, v18, v124
	v_dot4c_i32_i8_e32 v71, v18, v125
	v_dot4c_i32_i8_e32 v69, v18, v126
	v_dot4c_i32_i8_e32 v68, v18, v127
	v_dot4c_i32_i8_e32 v58, v19, v124
	v_dot4c_i32_i8_e32 v60, v19, v125
	v_dot4c_i32_i8_e32 v57, v19, v126
	v_dot4c_i32_i8_e32 v56, v19, v127
	s_waitcnt lgkmcnt(1)
	v_dot4c_i32_i8_e32 v82, v16, v128
	v_dot4c_i32_i8_e32 v83, v16, v129
	v_dot4c_i32_i8_e32 v81, v16, v130
	v_dot4c_i32_i8_e32 v80, v16, v131
	v_dot4c_i32_i8_e32 v77, v17, v128
	v_dot4c_i32_i8_e32 v79, v17, v129
	v_dot4c_i32_i8_e32 v76, v17, v130
	v_dot4c_i32_i8_e32 v73, v17, v131
	v_dot4c_i32_i8_e32 v66, v18, v128
	v_dot4c_i32_i8_e32 v67, v18, v129
	v_dot4c_i32_i8_e32 v65, v18, v130
	v_dot4c_i32_i8_e32 v64, v18, v131
	v_dot4c_i32_i8_e32 v62, v19, v128
	v_dot4c_i32_i8_e32 v63, v19, v129
	v_dot4c_i32_i8_e32 v61, v19, v130
	v_dot4c_i32_i8_e32 v59, v19, v131
	;; [unrolled: 17-line block ×3, first 2 shown]
	v_dot4c_i32_i8_e32 v29, v132, v128
	v_dot4c_i32_i8_e32 v33, v132, v129
	;; [unrolled: 1-line block ×16, first 2 shown]
	ds_read_b128 v[16:19], v53 offset:4608
	ds_read_b128 v[124:127], v54 offset:20992
	;; [unrolled: 1-line block ×4, first 2 shown]
	v_add_u32_e32 v117, s9, v117
	v_add_u32_e32 v118, s9, v118
	s_waitcnt lgkmcnt(2)
	v_dot4c_i32_i8_e32 v85, v16, v124
	v_dot4c_i32_i8_e32 v87, v16, v125
	v_dot4c_i32_i8_e32 v86, v16, v126
	v_dot4c_i32_i8_e32 v84, v16, v127
	v_dot4c_i32_i8_e32 v75, v17, v124
	v_dot4c_i32_i8_e32 v78, v17, v125
	v_dot4c_i32_i8_e32 v74, v17, v126
	v_dot4c_i32_i8_e32 v72, v17, v127
	v_dot4c_i32_i8_e32 v70, v18, v124
	v_dot4c_i32_i8_e32 v71, v18, v125
	v_dot4c_i32_i8_e32 v69, v18, v126
	v_dot4c_i32_i8_e32 v68, v18, v127
	v_dot4c_i32_i8_e32 v58, v19, v124
	v_dot4c_i32_i8_e32 v60, v19, v125
	v_dot4c_i32_i8_e32 v57, v19, v126
	v_dot4c_i32_i8_e32 v56, v19, v127
	s_waitcnt lgkmcnt(1)
	v_dot4c_i32_i8_e32 v82, v16, v128
	v_dot4c_i32_i8_e32 v83, v16, v129
	v_dot4c_i32_i8_e32 v81, v16, v130
	v_dot4c_i32_i8_e32 v80, v16, v131
	v_dot4c_i32_i8_e32 v77, v17, v128
	v_dot4c_i32_i8_e32 v79, v17, v129
	v_dot4c_i32_i8_e32 v76, v17, v130
	v_dot4c_i32_i8_e32 v73, v17, v131
	v_dot4c_i32_i8_e32 v66, v18, v128
	v_dot4c_i32_i8_e32 v67, v18, v129
	v_dot4c_i32_i8_e32 v65, v18, v130
	v_dot4c_i32_i8_e32 v64, v18, v131
	v_dot4c_i32_i8_e32 v62, v19, v128
	v_dot4c_i32_i8_e32 v63, v19, v129
	v_dot4c_i32_i8_e32 v61, v19, v130
	v_dot4c_i32_i8_e32 v59, v19, v131
	s_waitcnt lgkmcnt(0)
	v_dot4c_i32_i8_e32 v26, v132, v124
	v_dot4c_i32_i8_e32 v30, v132, v125
	v_dot4c_i32_i8_e32 v25, v132, v126
	v_dot4c_i32_i8_e32 v23, v132, v127
	v_dot4c_i32_i8_e32 v40, v133, v124
	v_dot4c_i32_i8_e32 v43, v133, v125
	v_dot4c_i32_i8_e32 v39, v133, v126
	v_dot4c_i32_i8_e32 v36, v133, v127
	v_dot4c_i32_i8_e32 v38, v134, v124
	v_dot4c_i32_i8_e32 v42, v134, v125
	v_dot4c_i32_i8_e32 v37, v134, v126
	v_dot4c_i32_i8_e32 v35, v134, v127
	v_dot4c_i32_i8_e32 v52, v135, v124
	v_dot4c_i32_i8_e32 v55, v135, v125
	v_dot4c_i32_i8_e32 v51, v135, v126
	v_dot4c_i32_i8_e32 v50, v135, v127
	v_dot4c_i32_i8_e32 v29, v132, v128
	v_dot4c_i32_i8_e32 v33, v132, v129
	v_dot4c_i32_i8_e32 v28, v132, v130
	v_dot4c_i32_i8_e32 v24, v132, v131
	v_dot4c_i32_i8_e32 v32, v133, v128
	v_dot4c_i32_i8_e32 v34, v133, v129
	v_dot4c_i32_i8_e32 v31, v133, v130
	v_dot4c_i32_i8_e32 v27, v133, v131
	v_dot4c_i32_i8_e32 v47, v134, v128
	v_dot4c_i32_i8_e32 v49, v134, v129
	v_dot4c_i32_i8_e32 v46, v134, v130
	v_dot4c_i32_i8_e32 v41, v134, v131
	v_dot4c_i32_i8_e32 v45, v135, v128
	v_dot4c_i32_i8_e32 v48, v135, v129
	v_dot4c_i32_i8_e32 v44, v135, v130
	v_dot4c_i32_i8_e32 v22, v135, v131
	ds_read_b128 v[16:19], v53 offset:5120
	ds_read_b128 v[124:127], v54 offset:21504
	ds_read_b128 v[128:131], v54 offset:21760
	ds_read_b128 v[132:135], v53 offset:5376
	v_add_u32_e32 v119, s9, v119
	v_add_u32_e32 v120, s9, v120
	s_waitcnt lgkmcnt(2)
	v_dot4c_i32_i8_e32 v85, v16, v124
	v_dot4c_i32_i8_e32 v87, v16, v125
	v_dot4c_i32_i8_e32 v86, v16, v126
	v_dot4c_i32_i8_e32 v84, v16, v127
	v_dot4c_i32_i8_e32 v75, v17, v124
	v_dot4c_i32_i8_e32 v78, v17, v125
	v_dot4c_i32_i8_e32 v74, v17, v126
	v_dot4c_i32_i8_e32 v72, v17, v127
	v_dot4c_i32_i8_e32 v70, v18, v124
	v_dot4c_i32_i8_e32 v71, v18, v125
	v_dot4c_i32_i8_e32 v69, v18, v126
	v_dot4c_i32_i8_e32 v68, v18, v127
	v_dot4c_i32_i8_e32 v58, v19, v124
	v_dot4c_i32_i8_e32 v60, v19, v125
	v_dot4c_i32_i8_e32 v57, v19, v126
	v_dot4c_i32_i8_e32 v56, v19, v127
	s_waitcnt lgkmcnt(1)
	v_dot4c_i32_i8_e32 v82, v16, v128
	v_dot4c_i32_i8_e32 v83, v16, v129
	v_dot4c_i32_i8_e32 v81, v16, v130
	v_dot4c_i32_i8_e32 v80, v16, v131
	v_dot4c_i32_i8_e32 v77, v17, v128
	v_dot4c_i32_i8_e32 v79, v17, v129
	v_dot4c_i32_i8_e32 v76, v17, v130
	v_dot4c_i32_i8_e32 v73, v17, v131
	v_dot4c_i32_i8_e32 v66, v18, v128
	v_dot4c_i32_i8_e32 v67, v18, v129
	v_dot4c_i32_i8_e32 v65, v18, v130
	v_dot4c_i32_i8_e32 v64, v18, v131
	v_dot4c_i32_i8_e32 v62, v19, v128
	v_dot4c_i32_i8_e32 v63, v19, v129
	v_dot4c_i32_i8_e32 v61, v19, v130
	v_dot4c_i32_i8_e32 v59, v19, v131
	;; [unrolled: 17-line block ×3, first 2 shown]
	v_dot4c_i32_i8_e32 v29, v132, v128
	v_dot4c_i32_i8_e32 v33, v132, v129
	;; [unrolled: 1-line block ×16, first 2 shown]
	ds_read_b128 v[16:19], v53 offset:5632
	ds_read_b128 v[124:127], v54 offset:22016
	;; [unrolled: 1-line block ×4, first 2 shown]
	v_add_u32_e32 v121, s9, v121
	s_and_b64 vcc, exec, vcc
	s_waitcnt lgkmcnt(2)
	v_dot4c_i32_i8_e32 v85, v16, v124
	v_dot4c_i32_i8_e32 v87, v16, v125
	v_dot4c_i32_i8_e32 v86, v16, v126
	v_dot4c_i32_i8_e32 v84, v16, v127
	v_dot4c_i32_i8_e32 v75, v17, v124
	v_dot4c_i32_i8_e32 v78, v17, v125
	v_dot4c_i32_i8_e32 v74, v17, v126
	v_dot4c_i32_i8_e32 v72, v17, v127
	v_dot4c_i32_i8_e32 v70, v18, v124
	v_dot4c_i32_i8_e32 v71, v18, v125
	v_dot4c_i32_i8_e32 v69, v18, v126
	v_dot4c_i32_i8_e32 v68, v18, v127
	v_dot4c_i32_i8_e32 v58, v19, v124
	v_dot4c_i32_i8_e32 v60, v19, v125
	v_dot4c_i32_i8_e32 v57, v19, v126
	v_dot4c_i32_i8_e32 v56, v19, v127
	s_waitcnt lgkmcnt(1)
	v_dot4c_i32_i8_e32 v82, v16, v128
	v_dot4c_i32_i8_e32 v83, v16, v129
	v_dot4c_i32_i8_e32 v81, v16, v130
	v_dot4c_i32_i8_e32 v80, v16, v131
	v_dot4c_i32_i8_e32 v77, v17, v128
	v_dot4c_i32_i8_e32 v79, v17, v129
	v_dot4c_i32_i8_e32 v76, v17, v130
	v_dot4c_i32_i8_e32 v73, v17, v131
	v_dot4c_i32_i8_e32 v66, v18, v128
	v_dot4c_i32_i8_e32 v67, v18, v129
	v_dot4c_i32_i8_e32 v65, v18, v130
	v_dot4c_i32_i8_e32 v64, v18, v131
	v_dot4c_i32_i8_e32 v62, v19, v128
	v_dot4c_i32_i8_e32 v63, v19, v129
	v_dot4c_i32_i8_e32 v61, v19, v130
	v_dot4c_i32_i8_e32 v59, v19, v131
	;; [unrolled: 17-line block ×3, first 2 shown]
	v_dot4c_i32_i8_e32 v29, v132, v128
	v_dot4c_i32_i8_e32 v33, v132, v129
	;; [unrolled: 1-line block ×16, first 2 shown]
	ds_read_b128 v[16:19], v53 offset:6144
	ds_read_b128 v[124:127], v54 offset:22528
	;; [unrolled: 1-line block ×4, first 2 shown]
	s_waitcnt lgkmcnt(2)
	v_dot4c_i32_i8_e32 v85, v16, v124
	v_dot4c_i32_i8_e32 v87, v16, v125
	v_dot4c_i32_i8_e32 v86, v16, v126
	v_dot4c_i32_i8_e32 v84, v16, v127
	v_dot4c_i32_i8_e32 v75, v17, v124
	v_dot4c_i32_i8_e32 v78, v17, v125
	v_dot4c_i32_i8_e32 v74, v17, v126
	v_dot4c_i32_i8_e32 v72, v17, v127
	v_dot4c_i32_i8_e32 v70, v18, v124
	v_dot4c_i32_i8_e32 v71, v18, v125
	v_dot4c_i32_i8_e32 v69, v18, v126
	v_dot4c_i32_i8_e32 v68, v18, v127
	v_dot4c_i32_i8_e32 v58, v19, v124
	v_dot4c_i32_i8_e32 v60, v19, v125
	v_dot4c_i32_i8_e32 v57, v19, v126
	v_dot4c_i32_i8_e32 v56, v19, v127
	s_waitcnt lgkmcnt(1)
	v_dot4c_i32_i8_e32 v82, v16, v128
	v_dot4c_i32_i8_e32 v83, v16, v129
	v_dot4c_i32_i8_e32 v81, v16, v130
	v_dot4c_i32_i8_e32 v80, v16, v131
	v_dot4c_i32_i8_e32 v77, v17, v128
	v_dot4c_i32_i8_e32 v79, v17, v129
	v_dot4c_i32_i8_e32 v76, v17, v130
	v_dot4c_i32_i8_e32 v73, v17, v131
	v_dot4c_i32_i8_e32 v66, v18, v128
	v_dot4c_i32_i8_e32 v67, v18, v129
	v_dot4c_i32_i8_e32 v65, v18, v130
	v_dot4c_i32_i8_e32 v64, v18, v131
	v_dot4c_i32_i8_e32 v62, v19, v128
	v_dot4c_i32_i8_e32 v63, v19, v129
	v_dot4c_i32_i8_e32 v61, v19, v130
	v_dot4c_i32_i8_e32 v59, v19, v131
	;; [unrolled: 17-line block ×3, first 2 shown]
	v_dot4c_i32_i8_e32 v29, v132, v128
	v_dot4c_i32_i8_e32 v33, v132, v129
	;; [unrolled: 1-line block ×16, first 2 shown]
	ds_read_b128 v[16:19], v53 offset:6656
	ds_read_b128 v[124:127], v54 offset:23040
	ds_read_b128 v[128:131], v54 offset:23296
	ds_read_b128 v[132:135], v53 offset:6912
	s_waitcnt lgkmcnt(2)
	v_dot4c_i32_i8_e32 v85, v16, v124
	v_dot4c_i32_i8_e32 v87, v16, v125
	v_dot4c_i32_i8_e32 v86, v16, v126
	v_dot4c_i32_i8_e32 v84, v16, v127
	v_dot4c_i32_i8_e32 v75, v17, v124
	v_dot4c_i32_i8_e32 v78, v17, v125
	v_dot4c_i32_i8_e32 v74, v17, v126
	v_dot4c_i32_i8_e32 v72, v17, v127
	v_dot4c_i32_i8_e32 v70, v18, v124
	v_dot4c_i32_i8_e32 v71, v18, v125
	v_dot4c_i32_i8_e32 v69, v18, v126
	v_dot4c_i32_i8_e32 v68, v18, v127
	v_dot4c_i32_i8_e32 v58, v19, v124
	v_dot4c_i32_i8_e32 v60, v19, v125
	v_dot4c_i32_i8_e32 v57, v19, v126
	v_dot4c_i32_i8_e32 v56, v19, v127
	s_waitcnt lgkmcnt(1)
	v_dot4c_i32_i8_e32 v82, v16, v128
	v_dot4c_i32_i8_e32 v83, v16, v129
	v_dot4c_i32_i8_e32 v81, v16, v130
	v_dot4c_i32_i8_e32 v80, v16, v131
	v_dot4c_i32_i8_e32 v77, v17, v128
	v_dot4c_i32_i8_e32 v79, v17, v129
	v_dot4c_i32_i8_e32 v76, v17, v130
	v_dot4c_i32_i8_e32 v73, v17, v131
	v_dot4c_i32_i8_e32 v66, v18, v128
	v_dot4c_i32_i8_e32 v67, v18, v129
	v_dot4c_i32_i8_e32 v65, v18, v130
	v_dot4c_i32_i8_e32 v64, v18, v131
	v_dot4c_i32_i8_e32 v62, v19, v128
	v_dot4c_i32_i8_e32 v63, v19, v129
	v_dot4c_i32_i8_e32 v61, v19, v130
	v_dot4c_i32_i8_e32 v59, v19, v131
	s_waitcnt lgkmcnt(0)
	v_dot4c_i32_i8_e32 v26, v132, v124
	v_dot4c_i32_i8_e32 v30, v132, v125
	v_dot4c_i32_i8_e32 v25, v132, v126
	v_dot4c_i32_i8_e32 v23, v132, v127
	v_dot4c_i32_i8_e32 v40, v133, v124
	v_dot4c_i32_i8_e32 v43, v133, v125
	v_dot4c_i32_i8_e32 v39, v133, v126
	v_dot4c_i32_i8_e32 v36, v133, v127
	v_dot4c_i32_i8_e32 v38, v134, v124
	v_dot4c_i32_i8_e32 v42, v134, v125
	v_dot4c_i32_i8_e32 v37, v134, v126
	v_dot4c_i32_i8_e32 v35, v134, v127
	v_dot4c_i32_i8_e32 v52, v135, v124
	v_dot4c_i32_i8_e32 v55, v135, v125
	v_dot4c_i32_i8_e32 v51, v135, v126
	v_dot4c_i32_i8_e32 v50, v135, v127
	v_dot4c_i32_i8_e32 v29, v132, v128
	v_dot4c_i32_i8_e32 v33, v132, v129
	v_dot4c_i32_i8_e32 v28, v132, v130
	v_dot4c_i32_i8_e32 v24, v132, v131
	v_dot4c_i32_i8_e32 v32, v133, v128
	v_dot4c_i32_i8_e32 v34, v133, v129
	v_dot4c_i32_i8_e32 v31, v133, v130
	v_dot4c_i32_i8_e32 v27, v133, v131
	v_dot4c_i32_i8_e32 v47, v134, v128
	v_dot4c_i32_i8_e32 v49, v134, v129
	v_dot4c_i32_i8_e32 v46, v134, v130
	v_dot4c_i32_i8_e32 v41, v134, v131
	v_dot4c_i32_i8_e32 v45, v135, v128
	v_dot4c_i32_i8_e32 v48, v135, v129
	v_dot4c_i32_i8_e32 v44, v135, v130
	v_dot4c_i32_i8_e32 v22, v135, v131
	ds_read_b128 v[16:19], v53 offset:7168
	ds_read_b128 v[124:127], v54 offset:23552
	;; [unrolled: 1-line block ×4, first 2 shown]
	s_waitcnt lgkmcnt(2)
	v_dot4c_i32_i8_e32 v85, v16, v124
	v_dot4c_i32_i8_e32 v87, v16, v125
	v_dot4c_i32_i8_e32 v86, v16, v126
	v_dot4c_i32_i8_e32 v84, v16, v127
	v_dot4c_i32_i8_e32 v75, v17, v124
	v_dot4c_i32_i8_e32 v78, v17, v125
	v_dot4c_i32_i8_e32 v74, v17, v126
	v_dot4c_i32_i8_e32 v72, v17, v127
	v_dot4c_i32_i8_e32 v70, v18, v124
	v_dot4c_i32_i8_e32 v71, v18, v125
	v_dot4c_i32_i8_e32 v69, v18, v126
	v_dot4c_i32_i8_e32 v68, v18, v127
	v_dot4c_i32_i8_e32 v58, v19, v124
	v_dot4c_i32_i8_e32 v60, v19, v125
	v_dot4c_i32_i8_e32 v57, v19, v126
	v_dot4c_i32_i8_e32 v56, v19, v127
	s_waitcnt lgkmcnt(1)
	v_dot4c_i32_i8_e32 v82, v16, v128
	v_dot4c_i32_i8_e32 v83, v16, v129
	v_dot4c_i32_i8_e32 v81, v16, v130
	v_dot4c_i32_i8_e32 v80, v16, v131
	v_dot4c_i32_i8_e32 v77, v17, v128
	v_dot4c_i32_i8_e32 v79, v17, v129
	v_dot4c_i32_i8_e32 v76, v17, v130
	v_dot4c_i32_i8_e32 v73, v17, v131
	v_dot4c_i32_i8_e32 v66, v18, v128
	v_dot4c_i32_i8_e32 v67, v18, v129
	v_dot4c_i32_i8_e32 v65, v18, v130
	v_dot4c_i32_i8_e32 v64, v18, v131
	v_dot4c_i32_i8_e32 v62, v19, v128
	v_dot4c_i32_i8_e32 v63, v19, v129
	v_dot4c_i32_i8_e32 v61, v19, v130
	v_dot4c_i32_i8_e32 v59, v19, v131
	;; [unrolled: 17-line block ×3, first 2 shown]
	v_dot4c_i32_i8_e32 v29, v132, v128
	v_dot4c_i32_i8_e32 v33, v132, v129
	;; [unrolled: 1-line block ×16, first 2 shown]
	ds_read_b128 v[16:19], v53 offset:7680
	ds_read_b128 v[124:127], v54 offset:24064
	;; [unrolled: 1-line block ×4, first 2 shown]
	s_waitcnt lgkmcnt(2)
	v_dot4c_i32_i8_e32 v75, v17, v124
	v_dot4c_i32_i8_e32 v78, v17, v125
	;; [unrolled: 1-line block ×8, first 2 shown]
	s_waitcnt lgkmcnt(1)
	v_dot4c_i32_i8_e32 v77, v17, v128
	v_dot4c_i32_i8_e32 v79, v17, v129
	;; [unrolled: 1-line block ×8, first 2 shown]
	v_perm_b32 v17, v14, v15, s2
	v_perm_b32 v18, v12, v13, s2
	v_dot4c_i32_i8_e32 v85, v16, v124
	v_dot4c_i32_i8_e32 v58, v19, v124
	;; [unrolled: 1-line block ×9, first 2 shown]
	s_waitcnt lgkmcnt(0)
	v_dot4c_i32_i8_e32 v26, v132, v124
	v_dot4c_i32_i8_e32 v40, v133, v124
	;; [unrolled: 1-line block ×4, first 2 shown]
	v_perm_b32 v19, v14, v15, s4
	v_lshl_or_b32 v124, v18, 16, v17
	v_perm_b32 v17, v14, v15, s5
	v_perm_b32 v18, v12, v13, s5
	;; [unrolled: 1-line block ×4, first 2 shown]
	v_dot4c_i32_i8_e32 v87, v16, v125
	v_dot4c_i32_i8_e32 v86, v16, v126
	;; [unrolled: 1-line block ×15, first 2 shown]
	v_lshl_or_b32 v125, v123, 16, v19
	v_lshl_or_b32 v126, v18, 16, v17
	;; [unrolled: 1-line block ×3, first 2 shown]
	s_waitcnt vmcnt(8)
	v_perm_b32 v13, v11, v10, s2
	v_perm_b32 v15, v9, v8, s2
	;; [unrolled: 1-line block ×4, first 2 shown]
	ds_write_b128 v89, v[124:127] offset:8192
	v_lshl_or_b32 v124, v15, 16, v13
	v_lshl_or_b32 v125, v123, 16, v19
	v_perm_b32 v13, v11, v10, s5
	v_perm_b32 v15, v9, v8, s5
	;; [unrolled: 1-line block ×4, first 2 shown]
	v_lshl_or_b32 v126, v15, 16, v13
	v_lshl_or_b32 v127, v8, 16, v19
	s_waitcnt vmcnt(6)
	v_perm_b32 v8, v0, v7, s2
	s_waitcnt vmcnt(4)
	v_perm_b32 v9, v1, v2, s2
	ds_write_b128 v89, v[124:127] offset:8704
	v_perm_b32 v19, v0, v7, s4
	v_perm_b32 v123, v1, v2, s4
	v_lshl_or_b32 v126, v9, 16, v8
	v_perm_b32 v8, v0, v7, s5
	v_perm_b32 v9, v1, v2, s5
	;; [unrolled: 1-line block ×4, first 2 shown]
	v_dot4c_i32_i8_e32 v83, v16, v129
	v_dot4c_i32_i8_e32 v33, v132, v129
	;; [unrolled: 1-line block ×5, first 2 shown]
	v_lshl_or_b32 v129, v1, 16, v0
	s_waitcnt vmcnt(0)
	v_perm_b32 v0, v6, v5, s2
	v_perm_b32 v1, v4, v3, s2
	;; [unrolled: 1-line block ×4, first 2 shown]
	v_dot4c_i32_i8_e32 v82, v16, v128
	v_dot4c_i32_i8_e32 v29, v132, v128
	;; [unrolled: 1-line block ×5, first 2 shown]
	v_lshl_or_b32 v127, v123, 16, v19
	v_lshl_or_b32 v128, v9, 16, v8
	;; [unrolled: 1-line block ×4, first 2 shown]
	v_perm_b32 v2, v6, v5, s5
	v_perm_b32 v7, v4, v3, s5
	;; [unrolled: 1-line block ×4, first 2 shown]
	v_dot4c_i32_i8_e32 v81, v16, v130
	v_dot4c_i32_i8_e32 v80, v16, v131
	v_add_u32_e32 v16, v88, v113
	v_add_u32_e32 v17, v88, v97
	;; [unrolled: 1-line block ×11, first 2 shown]
	ds_write_b128 v89, v[126:129] offset:24576
	v_lshl_or_b32 v2, v7, 16, v2
	v_lshl_or_b32 v3, v3, 16, v9
	v_dot4c_i32_i8_e32 v28, v132, v130
	v_dot4c_i32_i8_e32 v24, v132, v131
	;; [unrolled: 1-line block ×8, first 2 shown]
	v_add_u32_e32 v18, v88, v112
	v_add_u32_e32 v19, v88, v95
	;; [unrolled: 1-line block ×3, first 2 shown]
	buffer_load_dword v5, v16, s[16:19], 0 offen
	buffer_load_dword v6, v18, s[16:19], 0 offen
	buffer_load_dword v7, v14, s[16:19], 0 offen
	buffer_load_dword v8, v12, s[16:19], 0 offen
                                        ; kill: killed $vgpr12
                                        ; kill: killed $vgpr14
                                        ; kill: killed $vgpr18
	buffer_load_dword v131, v13, s[16:19], 0 offen
	buffer_load_dword v132, v15, s[16:19], 0 offen
	;; [unrolled: 1-line block ×3, first 2 shown]
                                        ; kill: killed $vgpr10
                                        ; kill: killed $vgpr15
                                        ; kill: killed $vgpr13
	buffer_load_dword v134, v11, s[16:19], 0 offen
	buffer_load_dword v127, v17, s[20:23], 0 offen
	;; [unrolled: 1-line block ×3, first 2 shown]
                                        ; kill: killed $vgpr11
                                        ; kill: killed $vgpr17
                                        ; kill: killed $vgpr123
	buffer_load_dword v129, v19, s[20:23], 0 offen
	buffer_load_dword v130, v124, s[20:23], 0 offen
	s_nop 0
	buffer_load_dword v123, v125, s[20:23], 0 offen
                                        ; kill: killed $vgpr125
                                        ; kill: killed $vgpr124
                                        ; kill: killed $vgpr19
	buffer_load_dword v124, v136, s[20:23], 0 offen
	s_nop 0
	buffer_load_dword v125, v135, s[20:23], 0 offen
	buffer_load_dword v126, v137, s[20:23], 0 offen
	ds_write_b128 v89, v[0:3] offset:25088
	s_waitcnt lgkmcnt(0)
	s_barrier
	ds_read_b128 v[0:3], v53 offset:8192
	ds_read_b128 v[10:13], v54 offset:24576
	;; [unrolled: 1-line block ×4, first 2 shown]
	v_add_u32_e32 v91, s8, v91
	v_add_u32_e32 v93, s8, v93
	s_waitcnt lgkmcnt(2)
	v_dot4c_i32_i8_e32 v85, v0, v10
	v_dot4c_i32_i8_e32 v87, v0, v11
	v_dot4c_i32_i8_e32 v86, v0, v12
	v_dot4c_i32_i8_e32 v84, v0, v13
	v_dot4c_i32_i8_e32 v75, v1, v10
	v_dot4c_i32_i8_e32 v78, v1, v11
	v_dot4c_i32_i8_e32 v74, v1, v12
	v_dot4c_i32_i8_e32 v72, v1, v13
	v_dot4c_i32_i8_e32 v70, v2, v10
	v_dot4c_i32_i8_e32 v71, v2, v11
	v_dot4c_i32_i8_e32 v69, v2, v12
	v_dot4c_i32_i8_e32 v68, v2, v13
	v_dot4c_i32_i8_e32 v58, v3, v10
	v_dot4c_i32_i8_e32 v60, v3, v11
	v_dot4c_i32_i8_e32 v57, v3, v12
	v_dot4c_i32_i8_e32 v56, v3, v13
	s_waitcnt lgkmcnt(1)
	v_dot4c_i32_i8_e32 v82, v0, v14
	v_dot4c_i32_i8_e32 v83, v0, v15
	v_dot4c_i32_i8_e32 v81, v0, v16
	v_dot4c_i32_i8_e32 v80, v0, v17
	v_dot4c_i32_i8_e32 v77, v1, v14
	v_dot4c_i32_i8_e32 v79, v1, v15
	v_dot4c_i32_i8_e32 v76, v1, v16
	v_dot4c_i32_i8_e32 v73, v1, v17
	v_dot4c_i32_i8_e32 v66, v2, v14
	v_dot4c_i32_i8_e32 v67, v2, v15
	v_dot4c_i32_i8_e32 v65, v2, v16
	v_dot4c_i32_i8_e32 v64, v2, v17
	v_dot4c_i32_i8_e32 v62, v3, v14
	v_dot4c_i32_i8_e32 v63, v3, v15
	v_dot4c_i32_i8_e32 v61, v3, v16
	v_dot4c_i32_i8_e32 v59, v3, v17
	;; [unrolled: 17-line block ×3, first 2 shown]
	v_dot4c_i32_i8_e32 v29, v136, v14
	v_dot4c_i32_i8_e32 v33, v136, v15
	;; [unrolled: 1-line block ×16, first 2 shown]
	ds_read_b128 v[0:3], v53 offset:8704
	ds_read_b128 v[10:13], v54 offset:25088
	;; [unrolled: 1-line block ×4, first 2 shown]
	s_waitcnt vmcnt(14)
	v_perm_b32 v4, v5, v6, s5
	s_waitcnt vmcnt(12)
	v_perm_b32 v9, v7, v8, s5
	s_waitcnt lgkmcnt(2)
	v_dot4c_i32_i8_e32 v85, v0, v10
	v_dot4c_i32_i8_e32 v87, v0, v11
	v_dot4c_i32_i8_e32 v86, v0, v12
	v_dot4c_i32_i8_e32 v84, v0, v13
	v_dot4c_i32_i8_e32 v75, v1, v10
	v_dot4c_i32_i8_e32 v78, v1, v11
	v_dot4c_i32_i8_e32 v74, v1, v12
	v_dot4c_i32_i8_e32 v72, v1, v13
	v_dot4c_i32_i8_e32 v70, v2, v10
	v_dot4c_i32_i8_e32 v71, v2, v11
	v_dot4c_i32_i8_e32 v69, v2, v12
	v_dot4c_i32_i8_e32 v68, v2, v13
	v_dot4c_i32_i8_e32 v58, v3, v10
	v_dot4c_i32_i8_e32 v60, v3, v11
	v_dot4c_i32_i8_e32 v57, v3, v12
	v_dot4c_i32_i8_e32 v56, v3, v13
	s_waitcnt lgkmcnt(1)
	v_dot4c_i32_i8_e32 v82, v0, v14
	v_dot4c_i32_i8_e32 v83, v0, v15
	v_dot4c_i32_i8_e32 v81, v0, v16
	v_dot4c_i32_i8_e32 v80, v0, v17
	v_dot4c_i32_i8_e32 v77, v1, v14
	v_dot4c_i32_i8_e32 v79, v1, v15
	v_dot4c_i32_i8_e32 v76, v1, v16
	v_dot4c_i32_i8_e32 v73, v1, v17
	v_dot4c_i32_i8_e32 v66, v2, v14
	v_dot4c_i32_i8_e32 v67, v2, v15
	v_dot4c_i32_i8_e32 v65, v2, v16
	v_dot4c_i32_i8_e32 v64, v2, v17
	v_dot4c_i32_i8_e32 v62, v3, v14
	v_dot4c_i32_i8_e32 v63, v3, v15
	v_dot4c_i32_i8_e32 v61, v3, v16
	v_dot4c_i32_i8_e32 v59, v3, v17
	;; [unrolled: 17-line block ×3, first 2 shown]
	v_dot4c_i32_i8_e32 v29, v136, v14
	v_dot4c_i32_i8_e32 v33, v136, v15
	;; [unrolled: 1-line block ×16, first 2 shown]
	ds_read_b128 v[0:3], v53 offset:9216
	ds_read_b128 v[10:13], v54 offset:25600
	;; [unrolled: 1-line block ×4, first 2 shown]
	v_add_u32_e32 v94, s8, v94
	v_add_u32_e32 v95, s8, v95
	s_waitcnt lgkmcnt(2)
	v_dot4c_i32_i8_e32 v85, v0, v10
	v_dot4c_i32_i8_e32 v87, v0, v11
	v_dot4c_i32_i8_e32 v86, v0, v12
	v_dot4c_i32_i8_e32 v84, v0, v13
	v_dot4c_i32_i8_e32 v75, v1, v10
	v_dot4c_i32_i8_e32 v78, v1, v11
	v_dot4c_i32_i8_e32 v74, v1, v12
	v_dot4c_i32_i8_e32 v72, v1, v13
	v_dot4c_i32_i8_e32 v70, v2, v10
	v_dot4c_i32_i8_e32 v71, v2, v11
	v_dot4c_i32_i8_e32 v69, v2, v12
	v_dot4c_i32_i8_e32 v68, v2, v13
	v_dot4c_i32_i8_e32 v58, v3, v10
	v_dot4c_i32_i8_e32 v60, v3, v11
	v_dot4c_i32_i8_e32 v57, v3, v12
	v_dot4c_i32_i8_e32 v56, v3, v13
	s_waitcnt lgkmcnt(1)
	v_dot4c_i32_i8_e32 v82, v0, v14
	v_dot4c_i32_i8_e32 v83, v0, v15
	v_dot4c_i32_i8_e32 v81, v0, v16
	v_dot4c_i32_i8_e32 v80, v0, v17
	v_dot4c_i32_i8_e32 v77, v1, v14
	v_dot4c_i32_i8_e32 v79, v1, v15
	v_dot4c_i32_i8_e32 v76, v1, v16
	v_dot4c_i32_i8_e32 v73, v1, v17
	v_dot4c_i32_i8_e32 v66, v2, v14
	v_dot4c_i32_i8_e32 v67, v2, v15
	v_dot4c_i32_i8_e32 v65, v2, v16
	v_dot4c_i32_i8_e32 v64, v2, v17
	v_dot4c_i32_i8_e32 v62, v3, v14
	v_dot4c_i32_i8_e32 v63, v3, v15
	v_dot4c_i32_i8_e32 v61, v3, v16
	v_dot4c_i32_i8_e32 v59, v3, v17
	;; [unrolled: 17-line block ×3, first 2 shown]
	v_dot4c_i32_i8_e32 v29, v136, v14
	v_dot4c_i32_i8_e32 v33, v136, v15
	;; [unrolled: 1-line block ×16, first 2 shown]
	ds_read_b128 v[0:3], v53 offset:9728
	ds_read_b128 v[10:13], v54 offset:26112
	ds_read_b128 v[14:17], v54 offset:26368
	ds_read_b128 v[136:139], v53 offset:9984
	v_add_u32_e32 v96, s8, v96
	v_add_u32_e32 v97, s8, v97
	s_waitcnt lgkmcnt(2)
	v_dot4c_i32_i8_e32 v85, v0, v10
	v_dot4c_i32_i8_e32 v87, v0, v11
	v_dot4c_i32_i8_e32 v86, v0, v12
	v_dot4c_i32_i8_e32 v84, v0, v13
	v_dot4c_i32_i8_e32 v75, v1, v10
	v_dot4c_i32_i8_e32 v78, v1, v11
	v_dot4c_i32_i8_e32 v74, v1, v12
	v_dot4c_i32_i8_e32 v72, v1, v13
	v_dot4c_i32_i8_e32 v70, v2, v10
	v_dot4c_i32_i8_e32 v71, v2, v11
	v_dot4c_i32_i8_e32 v69, v2, v12
	v_dot4c_i32_i8_e32 v68, v2, v13
	v_dot4c_i32_i8_e32 v58, v3, v10
	v_dot4c_i32_i8_e32 v60, v3, v11
	v_dot4c_i32_i8_e32 v57, v3, v12
	v_dot4c_i32_i8_e32 v56, v3, v13
	s_waitcnt lgkmcnt(1)
	v_dot4c_i32_i8_e32 v82, v0, v14
	v_dot4c_i32_i8_e32 v83, v0, v15
	v_dot4c_i32_i8_e32 v81, v0, v16
	v_dot4c_i32_i8_e32 v80, v0, v17
	v_dot4c_i32_i8_e32 v77, v1, v14
	v_dot4c_i32_i8_e32 v79, v1, v15
	v_dot4c_i32_i8_e32 v76, v1, v16
	v_dot4c_i32_i8_e32 v73, v1, v17
	v_dot4c_i32_i8_e32 v66, v2, v14
	v_dot4c_i32_i8_e32 v67, v2, v15
	v_dot4c_i32_i8_e32 v65, v2, v16
	v_dot4c_i32_i8_e32 v64, v2, v17
	v_dot4c_i32_i8_e32 v62, v3, v14
	v_dot4c_i32_i8_e32 v63, v3, v15
	v_dot4c_i32_i8_e32 v61, v3, v16
	v_dot4c_i32_i8_e32 v59, v3, v17
	;; [unrolled: 17-line block ×3, first 2 shown]
	v_dot4c_i32_i8_e32 v29, v136, v14
	v_dot4c_i32_i8_e32 v33, v136, v15
	;; [unrolled: 1-line block ×16, first 2 shown]
	ds_read_b128 v[0:3], v53 offset:10240
	ds_read_b128 v[10:13], v54 offset:26624
	;; [unrolled: 1-line block ×4, first 2 shown]
	v_add_u32_e32 v106, s9, v106
	v_add_u32_e32 v107, s9, v107
	s_waitcnt lgkmcnt(2)
	v_dot4c_i32_i8_e32 v85, v0, v10
	v_dot4c_i32_i8_e32 v87, v0, v11
	v_dot4c_i32_i8_e32 v86, v0, v12
	v_dot4c_i32_i8_e32 v84, v0, v13
	v_dot4c_i32_i8_e32 v75, v1, v10
	v_dot4c_i32_i8_e32 v78, v1, v11
	v_dot4c_i32_i8_e32 v74, v1, v12
	v_dot4c_i32_i8_e32 v72, v1, v13
	v_dot4c_i32_i8_e32 v70, v2, v10
	v_dot4c_i32_i8_e32 v71, v2, v11
	v_dot4c_i32_i8_e32 v69, v2, v12
	v_dot4c_i32_i8_e32 v68, v2, v13
	v_dot4c_i32_i8_e32 v58, v3, v10
	v_dot4c_i32_i8_e32 v60, v3, v11
	v_dot4c_i32_i8_e32 v57, v3, v12
	v_dot4c_i32_i8_e32 v56, v3, v13
	s_waitcnt lgkmcnt(1)
	v_dot4c_i32_i8_e32 v82, v0, v14
	v_dot4c_i32_i8_e32 v83, v0, v15
	v_dot4c_i32_i8_e32 v81, v0, v16
	v_dot4c_i32_i8_e32 v80, v0, v17
	v_dot4c_i32_i8_e32 v77, v1, v14
	v_dot4c_i32_i8_e32 v79, v1, v15
	v_dot4c_i32_i8_e32 v76, v1, v16
	v_dot4c_i32_i8_e32 v73, v1, v17
	v_dot4c_i32_i8_e32 v66, v2, v14
	v_dot4c_i32_i8_e32 v67, v2, v15
	v_dot4c_i32_i8_e32 v65, v2, v16
	v_dot4c_i32_i8_e32 v64, v2, v17
	v_dot4c_i32_i8_e32 v62, v3, v14
	v_dot4c_i32_i8_e32 v63, v3, v15
	v_dot4c_i32_i8_e32 v61, v3, v16
	v_dot4c_i32_i8_e32 v59, v3, v17
	s_waitcnt lgkmcnt(0)
	v_dot4c_i32_i8_e32 v26, v136, v10
	v_dot4c_i32_i8_e32 v30, v136, v11
	v_dot4c_i32_i8_e32 v25, v136, v12
	v_dot4c_i32_i8_e32 v23, v136, v13
	v_dot4c_i32_i8_e32 v40, v137, v10
	v_dot4c_i32_i8_e32 v43, v137, v11
	v_dot4c_i32_i8_e32 v39, v137, v12
	v_dot4c_i32_i8_e32 v36, v137, v13
	v_dot4c_i32_i8_e32 v38, v138, v10
	v_dot4c_i32_i8_e32 v42, v138, v11
	v_dot4c_i32_i8_e32 v37, v138, v12
	v_dot4c_i32_i8_e32 v35, v138, v13
	v_dot4c_i32_i8_e32 v52, v139, v10
	v_dot4c_i32_i8_e32 v55, v139, v11
	v_dot4c_i32_i8_e32 v51, v139, v12
	v_dot4c_i32_i8_e32 v50, v139, v13
	v_dot4c_i32_i8_e32 v29, v136, v14
	v_dot4c_i32_i8_e32 v33, v136, v15
	;; [unrolled: 1-line block ×16, first 2 shown]
	ds_read_b128 v[0:3], v53 offset:10752
	ds_read_b128 v[10:13], v54 offset:27136
	;; [unrolled: 1-line block ×4, first 2 shown]
	v_add_u32_e32 v108, s9, v108
	v_add_u32_e32 v109, s9, v109
	s_waitcnt lgkmcnt(2)
	v_dot4c_i32_i8_e32 v85, v0, v10
	v_dot4c_i32_i8_e32 v87, v0, v11
	v_dot4c_i32_i8_e32 v86, v0, v12
	v_dot4c_i32_i8_e32 v84, v0, v13
	v_dot4c_i32_i8_e32 v75, v1, v10
	v_dot4c_i32_i8_e32 v78, v1, v11
	v_dot4c_i32_i8_e32 v74, v1, v12
	v_dot4c_i32_i8_e32 v72, v1, v13
	v_dot4c_i32_i8_e32 v70, v2, v10
	v_dot4c_i32_i8_e32 v71, v2, v11
	v_dot4c_i32_i8_e32 v69, v2, v12
	v_dot4c_i32_i8_e32 v68, v2, v13
	v_dot4c_i32_i8_e32 v58, v3, v10
	v_dot4c_i32_i8_e32 v60, v3, v11
	v_dot4c_i32_i8_e32 v57, v3, v12
	v_dot4c_i32_i8_e32 v56, v3, v13
	s_waitcnt lgkmcnt(1)
	v_dot4c_i32_i8_e32 v82, v0, v14
	v_dot4c_i32_i8_e32 v83, v0, v15
	v_dot4c_i32_i8_e32 v81, v0, v16
	v_dot4c_i32_i8_e32 v80, v0, v17
	v_dot4c_i32_i8_e32 v77, v1, v14
	v_dot4c_i32_i8_e32 v79, v1, v15
	v_dot4c_i32_i8_e32 v76, v1, v16
	v_dot4c_i32_i8_e32 v73, v1, v17
	v_dot4c_i32_i8_e32 v66, v2, v14
	v_dot4c_i32_i8_e32 v67, v2, v15
	v_dot4c_i32_i8_e32 v65, v2, v16
	v_dot4c_i32_i8_e32 v64, v2, v17
	v_dot4c_i32_i8_e32 v62, v3, v14
	v_dot4c_i32_i8_e32 v63, v3, v15
	v_dot4c_i32_i8_e32 v61, v3, v16
	v_dot4c_i32_i8_e32 v59, v3, v17
	;; [unrolled: 17-line block ×3, first 2 shown]
	v_dot4c_i32_i8_e32 v29, v136, v14
	v_dot4c_i32_i8_e32 v33, v136, v15
	;; [unrolled: 1-line block ×16, first 2 shown]
	ds_read_b128 v[0:3], v53 offset:11264
	ds_read_b128 v[10:13], v54 offset:27648
	;; [unrolled: 1-line block ×4, first 2 shown]
	v_add_u32_e32 v110, s9, v110
	v_add_u32_e32 v111, s9, v111
	s_waitcnt lgkmcnt(2)
	v_dot4c_i32_i8_e32 v85, v0, v10
	v_dot4c_i32_i8_e32 v87, v0, v11
	v_dot4c_i32_i8_e32 v86, v0, v12
	v_dot4c_i32_i8_e32 v84, v0, v13
	v_dot4c_i32_i8_e32 v75, v1, v10
	v_dot4c_i32_i8_e32 v78, v1, v11
	v_dot4c_i32_i8_e32 v74, v1, v12
	v_dot4c_i32_i8_e32 v72, v1, v13
	v_dot4c_i32_i8_e32 v70, v2, v10
	v_dot4c_i32_i8_e32 v71, v2, v11
	v_dot4c_i32_i8_e32 v69, v2, v12
	v_dot4c_i32_i8_e32 v68, v2, v13
	v_dot4c_i32_i8_e32 v58, v3, v10
	v_dot4c_i32_i8_e32 v60, v3, v11
	v_dot4c_i32_i8_e32 v57, v3, v12
	v_dot4c_i32_i8_e32 v56, v3, v13
	s_waitcnt lgkmcnt(1)
	v_dot4c_i32_i8_e32 v82, v0, v14
	v_dot4c_i32_i8_e32 v83, v0, v15
	v_dot4c_i32_i8_e32 v81, v0, v16
	v_dot4c_i32_i8_e32 v80, v0, v17
	v_dot4c_i32_i8_e32 v77, v1, v14
	v_dot4c_i32_i8_e32 v79, v1, v15
	v_dot4c_i32_i8_e32 v76, v1, v16
	v_dot4c_i32_i8_e32 v73, v1, v17
	v_dot4c_i32_i8_e32 v66, v2, v14
	v_dot4c_i32_i8_e32 v67, v2, v15
	v_dot4c_i32_i8_e32 v65, v2, v16
	v_dot4c_i32_i8_e32 v64, v2, v17
	v_dot4c_i32_i8_e32 v62, v3, v14
	v_dot4c_i32_i8_e32 v63, v3, v15
	v_dot4c_i32_i8_e32 v61, v3, v16
	v_dot4c_i32_i8_e32 v59, v3, v17
	;; [unrolled: 17-line block ×3, first 2 shown]
	v_dot4c_i32_i8_e32 v29, v136, v14
	v_dot4c_i32_i8_e32 v33, v136, v15
	;; [unrolled: 1-line block ×16, first 2 shown]
	ds_read_b128 v[0:3], v53 offset:11776
	ds_read_b128 v[10:13], v54 offset:28160
	;; [unrolled: 1-line block ×4, first 2 shown]
	v_add_u32_e32 v112, s9, v112
	v_add_u32_e32 v113, s9, v113
	s_waitcnt lgkmcnt(2)
	v_dot4c_i32_i8_e32 v85, v0, v10
	v_dot4c_i32_i8_e32 v87, v0, v11
	v_dot4c_i32_i8_e32 v86, v0, v12
	v_dot4c_i32_i8_e32 v84, v0, v13
	v_dot4c_i32_i8_e32 v75, v1, v10
	v_dot4c_i32_i8_e32 v78, v1, v11
	v_dot4c_i32_i8_e32 v74, v1, v12
	v_dot4c_i32_i8_e32 v72, v1, v13
	v_dot4c_i32_i8_e32 v70, v2, v10
	v_dot4c_i32_i8_e32 v71, v2, v11
	v_dot4c_i32_i8_e32 v69, v2, v12
	v_dot4c_i32_i8_e32 v68, v2, v13
	v_dot4c_i32_i8_e32 v58, v3, v10
	v_dot4c_i32_i8_e32 v60, v3, v11
	v_dot4c_i32_i8_e32 v57, v3, v12
	v_dot4c_i32_i8_e32 v56, v3, v13
	s_waitcnt lgkmcnt(1)
	v_dot4c_i32_i8_e32 v82, v0, v14
	v_dot4c_i32_i8_e32 v83, v0, v15
	v_dot4c_i32_i8_e32 v81, v0, v16
	v_dot4c_i32_i8_e32 v80, v0, v17
	v_dot4c_i32_i8_e32 v77, v1, v14
	v_dot4c_i32_i8_e32 v79, v1, v15
	v_dot4c_i32_i8_e32 v76, v1, v16
	v_dot4c_i32_i8_e32 v73, v1, v17
	v_dot4c_i32_i8_e32 v66, v2, v14
	v_dot4c_i32_i8_e32 v67, v2, v15
	v_dot4c_i32_i8_e32 v65, v2, v16
	v_dot4c_i32_i8_e32 v64, v2, v17
	v_dot4c_i32_i8_e32 v62, v3, v14
	v_dot4c_i32_i8_e32 v63, v3, v15
	v_dot4c_i32_i8_e32 v61, v3, v16
	v_dot4c_i32_i8_e32 v59, v3, v17
	;; [unrolled: 17-line block ×3, first 2 shown]
	v_dot4c_i32_i8_e32 v29, v136, v14
	v_dot4c_i32_i8_e32 v33, v136, v15
	;; [unrolled: 1-line block ×16, first 2 shown]
	ds_read_b128 v[0:3], v53 offset:12288
	ds_read_b128 v[10:13], v54 offset:28672
	;; [unrolled: 1-line block ×4, first 2 shown]
	s_waitcnt lgkmcnt(2)
	v_dot4c_i32_i8_e32 v85, v0, v10
	v_dot4c_i32_i8_e32 v87, v0, v11
	v_dot4c_i32_i8_e32 v86, v0, v12
	v_dot4c_i32_i8_e32 v84, v0, v13
	v_dot4c_i32_i8_e32 v75, v1, v10
	v_dot4c_i32_i8_e32 v78, v1, v11
	v_dot4c_i32_i8_e32 v74, v1, v12
	v_dot4c_i32_i8_e32 v72, v1, v13
	v_dot4c_i32_i8_e32 v70, v2, v10
	v_dot4c_i32_i8_e32 v71, v2, v11
	v_dot4c_i32_i8_e32 v69, v2, v12
	v_dot4c_i32_i8_e32 v68, v2, v13
	v_dot4c_i32_i8_e32 v58, v3, v10
	v_dot4c_i32_i8_e32 v60, v3, v11
	v_dot4c_i32_i8_e32 v57, v3, v12
	v_dot4c_i32_i8_e32 v56, v3, v13
	s_waitcnt lgkmcnt(1)
	v_dot4c_i32_i8_e32 v82, v0, v14
	v_dot4c_i32_i8_e32 v83, v0, v15
	v_dot4c_i32_i8_e32 v81, v0, v16
	v_dot4c_i32_i8_e32 v80, v0, v17
	v_dot4c_i32_i8_e32 v77, v1, v14
	v_dot4c_i32_i8_e32 v79, v1, v15
	v_dot4c_i32_i8_e32 v76, v1, v16
	v_dot4c_i32_i8_e32 v73, v1, v17
	v_dot4c_i32_i8_e32 v66, v2, v14
	v_dot4c_i32_i8_e32 v67, v2, v15
	v_dot4c_i32_i8_e32 v65, v2, v16
	v_dot4c_i32_i8_e32 v64, v2, v17
	v_dot4c_i32_i8_e32 v62, v3, v14
	v_dot4c_i32_i8_e32 v63, v3, v15
	v_dot4c_i32_i8_e32 v61, v3, v16
	v_dot4c_i32_i8_e32 v59, v3, v17
	s_waitcnt lgkmcnt(0)
	v_dot4c_i32_i8_e32 v26, v136, v10
	v_dot4c_i32_i8_e32 v30, v136, v11
	v_dot4c_i32_i8_e32 v25, v136, v12
	v_dot4c_i32_i8_e32 v23, v136, v13
	v_dot4c_i32_i8_e32 v40, v137, v10
	v_dot4c_i32_i8_e32 v43, v137, v11
	v_dot4c_i32_i8_e32 v39, v137, v12
	v_dot4c_i32_i8_e32 v36, v137, v13
	v_dot4c_i32_i8_e32 v38, v138, v10
	v_dot4c_i32_i8_e32 v42, v138, v11
	v_dot4c_i32_i8_e32 v37, v138, v12
	v_dot4c_i32_i8_e32 v35, v138, v13
	v_dot4c_i32_i8_e32 v52, v139, v10
	v_dot4c_i32_i8_e32 v55, v139, v11
	v_dot4c_i32_i8_e32 v51, v139, v12
	v_dot4c_i32_i8_e32 v50, v139, v13
	v_dot4c_i32_i8_e32 v29, v136, v14
	v_dot4c_i32_i8_e32 v33, v136, v15
	;; [unrolled: 1-line block ×16, first 2 shown]
	ds_read_b128 v[0:3], v53 offset:12800
	ds_read_b128 v[10:13], v54 offset:29184
	;; [unrolled: 1-line block ×4, first 2 shown]
	s_waitcnt lgkmcnt(2)
	v_dot4c_i32_i8_e32 v85, v0, v10
	v_dot4c_i32_i8_e32 v87, v0, v11
	v_dot4c_i32_i8_e32 v86, v0, v12
	v_dot4c_i32_i8_e32 v84, v0, v13
	v_dot4c_i32_i8_e32 v75, v1, v10
	v_dot4c_i32_i8_e32 v78, v1, v11
	v_dot4c_i32_i8_e32 v74, v1, v12
	v_dot4c_i32_i8_e32 v72, v1, v13
	v_dot4c_i32_i8_e32 v70, v2, v10
	v_dot4c_i32_i8_e32 v71, v2, v11
	v_dot4c_i32_i8_e32 v69, v2, v12
	v_dot4c_i32_i8_e32 v68, v2, v13
	v_dot4c_i32_i8_e32 v58, v3, v10
	v_dot4c_i32_i8_e32 v60, v3, v11
	v_dot4c_i32_i8_e32 v57, v3, v12
	v_dot4c_i32_i8_e32 v56, v3, v13
	s_waitcnt lgkmcnt(1)
	v_dot4c_i32_i8_e32 v82, v0, v14
	v_dot4c_i32_i8_e32 v83, v0, v15
	v_dot4c_i32_i8_e32 v81, v0, v16
	v_dot4c_i32_i8_e32 v80, v0, v17
	v_dot4c_i32_i8_e32 v77, v1, v14
	v_dot4c_i32_i8_e32 v79, v1, v15
	v_dot4c_i32_i8_e32 v76, v1, v16
	v_dot4c_i32_i8_e32 v73, v1, v17
	v_dot4c_i32_i8_e32 v66, v2, v14
	v_dot4c_i32_i8_e32 v67, v2, v15
	v_dot4c_i32_i8_e32 v65, v2, v16
	v_dot4c_i32_i8_e32 v64, v2, v17
	v_dot4c_i32_i8_e32 v62, v3, v14
	v_dot4c_i32_i8_e32 v63, v3, v15
	v_dot4c_i32_i8_e32 v61, v3, v16
	v_dot4c_i32_i8_e32 v59, v3, v17
	;; [unrolled: 17-line block ×3, first 2 shown]
	v_dot4c_i32_i8_e32 v29, v136, v14
	v_dot4c_i32_i8_e32 v33, v136, v15
	;; [unrolled: 1-line block ×16, first 2 shown]
	ds_read_b128 v[0:3], v53 offset:13312
	ds_read_b128 v[10:13], v54 offset:29696
	;; [unrolled: 1-line block ×4, first 2 shown]
	s_waitcnt lgkmcnt(2)
	v_dot4c_i32_i8_e32 v85, v0, v10
	v_dot4c_i32_i8_e32 v87, v0, v11
	v_dot4c_i32_i8_e32 v86, v0, v12
	v_dot4c_i32_i8_e32 v84, v0, v13
	v_dot4c_i32_i8_e32 v75, v1, v10
	v_dot4c_i32_i8_e32 v78, v1, v11
	v_dot4c_i32_i8_e32 v74, v1, v12
	v_dot4c_i32_i8_e32 v72, v1, v13
	v_dot4c_i32_i8_e32 v70, v2, v10
	v_dot4c_i32_i8_e32 v71, v2, v11
	v_dot4c_i32_i8_e32 v69, v2, v12
	v_dot4c_i32_i8_e32 v68, v2, v13
	v_dot4c_i32_i8_e32 v58, v3, v10
	v_dot4c_i32_i8_e32 v60, v3, v11
	v_dot4c_i32_i8_e32 v57, v3, v12
	v_dot4c_i32_i8_e32 v56, v3, v13
	s_waitcnt lgkmcnt(1)
	v_dot4c_i32_i8_e32 v82, v0, v14
	v_dot4c_i32_i8_e32 v83, v0, v15
	v_dot4c_i32_i8_e32 v81, v0, v16
	v_dot4c_i32_i8_e32 v80, v0, v17
	v_dot4c_i32_i8_e32 v77, v1, v14
	v_dot4c_i32_i8_e32 v79, v1, v15
	v_dot4c_i32_i8_e32 v76, v1, v16
	v_dot4c_i32_i8_e32 v73, v1, v17
	v_dot4c_i32_i8_e32 v66, v2, v14
	v_dot4c_i32_i8_e32 v67, v2, v15
	v_dot4c_i32_i8_e32 v65, v2, v16
	v_dot4c_i32_i8_e32 v64, v2, v17
	v_dot4c_i32_i8_e32 v62, v3, v14
	v_dot4c_i32_i8_e32 v63, v3, v15
	v_dot4c_i32_i8_e32 v61, v3, v16
	v_dot4c_i32_i8_e32 v59, v3, v17
	;; [unrolled: 17-line block ×3, first 2 shown]
	v_dot4c_i32_i8_e32 v29, v136, v14
	v_dot4c_i32_i8_e32 v33, v136, v15
	;; [unrolled: 1-line block ×16, first 2 shown]
	ds_read_b128 v[0:3], v53 offset:13824
	ds_read_b128 v[10:13], v54 offset:30208
	;; [unrolled: 1-line block ×4, first 2 shown]
	s_waitcnt lgkmcnt(2)
	v_dot4c_i32_i8_e32 v85, v0, v10
	v_dot4c_i32_i8_e32 v87, v0, v11
	v_dot4c_i32_i8_e32 v86, v0, v12
	v_dot4c_i32_i8_e32 v84, v0, v13
	v_dot4c_i32_i8_e32 v75, v1, v10
	v_dot4c_i32_i8_e32 v78, v1, v11
	v_dot4c_i32_i8_e32 v74, v1, v12
	v_dot4c_i32_i8_e32 v72, v1, v13
	v_dot4c_i32_i8_e32 v70, v2, v10
	v_dot4c_i32_i8_e32 v71, v2, v11
	v_dot4c_i32_i8_e32 v69, v2, v12
	v_dot4c_i32_i8_e32 v68, v2, v13
	v_dot4c_i32_i8_e32 v58, v3, v10
	v_dot4c_i32_i8_e32 v60, v3, v11
	v_dot4c_i32_i8_e32 v57, v3, v12
	v_dot4c_i32_i8_e32 v56, v3, v13
	s_waitcnt lgkmcnt(1)
	v_dot4c_i32_i8_e32 v82, v0, v14
	v_dot4c_i32_i8_e32 v83, v0, v15
	v_dot4c_i32_i8_e32 v81, v0, v16
	v_dot4c_i32_i8_e32 v80, v0, v17
	v_dot4c_i32_i8_e32 v77, v1, v14
	v_dot4c_i32_i8_e32 v79, v1, v15
	v_dot4c_i32_i8_e32 v76, v1, v16
	v_dot4c_i32_i8_e32 v73, v1, v17
	v_dot4c_i32_i8_e32 v66, v2, v14
	v_dot4c_i32_i8_e32 v67, v2, v15
	v_dot4c_i32_i8_e32 v65, v2, v16
	v_dot4c_i32_i8_e32 v64, v2, v17
	v_dot4c_i32_i8_e32 v62, v3, v14
	v_dot4c_i32_i8_e32 v63, v3, v15
	v_dot4c_i32_i8_e32 v61, v3, v16
	v_dot4c_i32_i8_e32 v59, v3, v17
	;; [unrolled: 17-line block ×3, first 2 shown]
	v_dot4c_i32_i8_e32 v29, v136, v14
	v_dot4c_i32_i8_e32 v33, v136, v15
	;; [unrolled: 1-line block ×16, first 2 shown]
	ds_read_b128 v[0:3], v53 offset:14336
	ds_read_b128 v[10:13], v54 offset:30720
	;; [unrolled: 1-line block ×4, first 2 shown]
	s_waitcnt lgkmcnt(2)
	v_dot4c_i32_i8_e32 v85, v0, v10
	v_dot4c_i32_i8_e32 v87, v0, v11
	v_dot4c_i32_i8_e32 v86, v0, v12
	v_dot4c_i32_i8_e32 v84, v0, v13
	v_dot4c_i32_i8_e32 v75, v1, v10
	v_dot4c_i32_i8_e32 v78, v1, v11
	v_dot4c_i32_i8_e32 v74, v1, v12
	v_dot4c_i32_i8_e32 v72, v1, v13
	v_dot4c_i32_i8_e32 v70, v2, v10
	v_dot4c_i32_i8_e32 v71, v2, v11
	v_dot4c_i32_i8_e32 v69, v2, v12
	v_dot4c_i32_i8_e32 v68, v2, v13
	v_dot4c_i32_i8_e32 v58, v3, v10
	v_dot4c_i32_i8_e32 v60, v3, v11
	v_dot4c_i32_i8_e32 v57, v3, v12
	v_dot4c_i32_i8_e32 v56, v3, v13
	s_waitcnt lgkmcnt(1)
	v_dot4c_i32_i8_e32 v82, v0, v14
	v_dot4c_i32_i8_e32 v83, v0, v15
	v_dot4c_i32_i8_e32 v81, v0, v16
	v_dot4c_i32_i8_e32 v80, v0, v17
	v_dot4c_i32_i8_e32 v77, v1, v14
	v_dot4c_i32_i8_e32 v79, v1, v15
	v_dot4c_i32_i8_e32 v76, v1, v16
	v_dot4c_i32_i8_e32 v73, v1, v17
	v_dot4c_i32_i8_e32 v66, v2, v14
	v_dot4c_i32_i8_e32 v67, v2, v15
	v_dot4c_i32_i8_e32 v65, v2, v16
	v_dot4c_i32_i8_e32 v64, v2, v17
	v_dot4c_i32_i8_e32 v62, v3, v14
	v_dot4c_i32_i8_e32 v63, v3, v15
	v_dot4c_i32_i8_e32 v61, v3, v16
	v_dot4c_i32_i8_e32 v59, v3, v17
	;; [unrolled: 17-line block ×3, first 2 shown]
	v_dot4c_i32_i8_e32 v29, v136, v14
	v_dot4c_i32_i8_e32 v33, v136, v15
	;; [unrolled: 1-line block ×16, first 2 shown]
	ds_read_b128 v[0:3], v53 offset:14848
	ds_read_b128 v[10:13], v54 offset:31232
	;; [unrolled: 1-line block ×4, first 2 shown]
	s_waitcnt lgkmcnt(2)
	v_dot4c_i32_i8_e32 v85, v0, v10
	v_dot4c_i32_i8_e32 v87, v0, v11
	v_dot4c_i32_i8_e32 v86, v0, v12
	v_dot4c_i32_i8_e32 v84, v0, v13
	v_dot4c_i32_i8_e32 v75, v1, v10
	v_dot4c_i32_i8_e32 v78, v1, v11
	v_dot4c_i32_i8_e32 v74, v1, v12
	v_dot4c_i32_i8_e32 v72, v1, v13
	v_dot4c_i32_i8_e32 v70, v2, v10
	v_dot4c_i32_i8_e32 v71, v2, v11
	v_dot4c_i32_i8_e32 v69, v2, v12
	v_dot4c_i32_i8_e32 v68, v2, v13
	v_dot4c_i32_i8_e32 v58, v3, v10
	v_dot4c_i32_i8_e32 v60, v3, v11
	v_dot4c_i32_i8_e32 v57, v3, v12
	v_dot4c_i32_i8_e32 v56, v3, v13
	s_waitcnt lgkmcnt(1)
	v_dot4c_i32_i8_e32 v82, v0, v14
	v_dot4c_i32_i8_e32 v83, v0, v15
	v_dot4c_i32_i8_e32 v81, v0, v16
	v_dot4c_i32_i8_e32 v80, v0, v17
	v_dot4c_i32_i8_e32 v77, v1, v14
	v_dot4c_i32_i8_e32 v79, v1, v15
	v_dot4c_i32_i8_e32 v76, v1, v16
	v_dot4c_i32_i8_e32 v73, v1, v17
	v_dot4c_i32_i8_e32 v66, v2, v14
	v_dot4c_i32_i8_e32 v67, v2, v15
	v_dot4c_i32_i8_e32 v65, v2, v16
	v_dot4c_i32_i8_e32 v64, v2, v17
	v_dot4c_i32_i8_e32 v62, v3, v14
	v_dot4c_i32_i8_e32 v63, v3, v15
	v_dot4c_i32_i8_e32 v61, v3, v16
	v_dot4c_i32_i8_e32 v59, v3, v17
	;; [unrolled: 17-line block ×3, first 2 shown]
	v_dot4c_i32_i8_e32 v29, v136, v14
	v_dot4c_i32_i8_e32 v33, v136, v15
	;; [unrolled: 1-line block ×16, first 2 shown]
	ds_read_b128 v[0:3], v53 offset:15360
	ds_read_b128 v[10:13], v54 offset:31744
	;; [unrolled: 1-line block ×4, first 2 shown]
	s_waitcnt lgkmcnt(2)
	v_dot4c_i32_i8_e32 v85, v0, v10
	v_dot4c_i32_i8_e32 v87, v0, v11
	;; [unrolled: 1-line block ×16, first 2 shown]
	s_waitcnt lgkmcnt(1)
	v_dot4c_i32_i8_e32 v82, v0, v14
	v_dot4c_i32_i8_e32 v83, v0, v15
	;; [unrolled: 1-line block ×16, first 2 shown]
	v_perm_b32 v0, v5, v6, s2
	v_perm_b32 v1, v7, v8, s2
	;; [unrolled: 1-line block ×6, first 2 shown]
	v_lshl_or_b32 v0, v1, 16, v0
	v_lshl_or_b32 v1, v3, 16, v2
	;; [unrolled: 1-line block ×4, first 2 shown]
	s_waitcnt lgkmcnt(0)
	v_dot4c_i32_i8_e32 v26, v136, v10
	v_dot4c_i32_i8_e32 v30, v136, v11
	;; [unrolled: 1-line block ×32, first 2 shown]
	ds_read_b128 v[12:15], v54 offset:32256
	ds_read_b128 v[4:7], v54 offset:32512
	ds_read_b128 v[16:19], v53 offset:15872
	ds_read_b128 v[8:11], v53 offset:16128
	ds_write_b128 v89, v[0:3]
	s_waitcnt vmcnt(8)
	v_perm_b32 v0, v134, v133, s2
	v_perm_b32 v1, v132, v131, s2
	;; [unrolled: 1-line block ×4, first 2 shown]
	v_lshl_or_b32 v0, v1, 16, v0
	v_lshl_or_b32 v1, v3, 16, v2
	v_perm_b32 v2, v134, v133, s5
	v_perm_b32 v3, v132, v131, s5
	v_lshl_or_b32 v2, v3, 16, v2
	v_perm_b32 v3, v134, v133, s6
	v_perm_b32 v131, v132, v131, s6
	v_lshl_or_b32 v3, v131, 16, v3
	ds_write_b128 v89, v[0:3] offset:512
	s_waitcnt vmcnt(6)
	v_perm_b32 v0, v127, v128, s2
	s_waitcnt vmcnt(4)
	v_perm_b32 v1, v129, v130, s2
	v_perm_b32 v2, v127, v128, s4
	;; [unrolled: 1-line block ×3, first 2 shown]
	v_lshl_or_b32 v0, v1, 16, v0
	v_lshl_or_b32 v1, v3, 16, v2
	v_perm_b32 v2, v127, v128, s5
	v_perm_b32 v3, v129, v130, s5
	v_lshl_or_b32 v2, v3, 16, v2
	v_perm_b32 v3, v127, v128, s6
	v_perm_b32 v127, v129, v130, s6
	v_lshl_or_b32 v3, v127, 16, v3
	ds_write_b128 v89, v[0:3] offset:16384
	s_waitcnt vmcnt(0)
	v_perm_b32 v0, v126, v125, s2
	v_perm_b32 v1, v124, v123, s2
	;; [unrolled: 1-line block ×4, first 2 shown]
	v_lshl_or_b32 v0, v1, 16, v0
	v_lshl_or_b32 v1, v3, 16, v2
	v_perm_b32 v2, v126, v125, s5
	v_perm_b32 v3, v124, v123, s5
	v_lshl_or_b32 v2, v3, 16, v2
	v_perm_b32 v3, v126, v125, s6
	v_perm_b32 v123, v124, v123, s6
	v_lshl_or_b32 v3, v123, 16, v3
	s_waitcnt lgkmcnt(4)
	v_dot4c_i32_i8_e32 v85, v16, v12
	v_dot4c_i32_i8_e32 v87, v16, v13
	;; [unrolled: 1-line block ×32, first 2 shown]
	s_waitcnt lgkmcnt(3)
	v_dot4c_i32_i8_e32 v26, v8, v12
	v_dot4c_i32_i8_e32 v30, v8, v13
	;; [unrolled: 1-line block ×32, first 2 shown]
	ds_write_b128 v89, v[0:3] offset:16896
	s_cbranch_vccnz .LBB2_1
; %bb.2:
	s_waitcnt lgkmcnt(0)
	s_barrier
	ds_read_b128 v[0:3], v53
	ds_read_b128 v[4:7], v54 offset:16384
	ds_read_b128 v[8:11], v54 offset:16640
	;; [unrolled: 1-line block ×3, first 2 shown]
	s_and_b32 s13, s13, 0xffff
	s_mov_b32 s15, 0x20000
	s_waitcnt lgkmcnt(2)
	v_dot4c_i32_i8_e32 v85, v0, v4
	v_dot4c_i32_i8_e32 v87, v0, v5
	;; [unrolled: 1-line block ×16, first 2 shown]
	s_waitcnt lgkmcnt(1)
	v_dot4c_i32_i8_e32 v82, v0, v8
	v_dot4c_i32_i8_e32 v83, v0, v9
	v_dot4c_i32_i8_e32 v81, v0, v10
	v_dot4c_i32_i8_e32 v80, v0, v11
	v_dot4c_i32_i8_e32 v77, v1, v8
	v_dot4c_i32_i8_e32 v79, v1, v9
	v_dot4c_i32_i8_e32 v76, v1, v10
	v_dot4c_i32_i8_e32 v73, v1, v11
	v_dot4c_i32_i8_e32 v66, v2, v8
	v_dot4c_i32_i8_e32 v67, v2, v9
	v_dot4c_i32_i8_e32 v65, v2, v10
	v_dot4c_i32_i8_e32 v64, v2, v11
	v_dot4c_i32_i8_e32 v62, v3, v8
	v_dot4c_i32_i8_e32 v63, v3, v9
	v_dot4c_i32_i8_e32 v61, v3, v10
	v_dot4c_i32_i8_e32 v59, v3, v11
	ds_read_b128 v[0:3], v53 offset:512
	s_waitcnt lgkmcnt(1)
	v_dot4c_i32_i8_e32 v26, v12, v4
	v_dot4c_i32_i8_e32 v30, v12, v5
	;; [unrolled: 1-line block ×16, first 2 shown]
	ds_read_b128 v[4:7], v54 offset:16896
	v_dot4c_i32_i8_e32 v29, v12, v8
	v_dot4c_i32_i8_e32 v33, v12, v9
	;; [unrolled: 1-line block ×16, first 2 shown]
	ds_read_b128 v[8:11], v54 offset:17152
	ds_read_b128 v[12:15], v53 offset:768
	s_waitcnt lgkmcnt(2)
	v_dot4c_i32_i8_e32 v85, v0, v4
	v_dot4c_i32_i8_e32 v87, v0, v5
	;; [unrolled: 1-line block ×16, first 2 shown]
	s_waitcnt lgkmcnt(1)
	v_dot4c_i32_i8_e32 v82, v0, v8
	v_dot4c_i32_i8_e32 v83, v0, v9
	;; [unrolled: 1-line block ×16, first 2 shown]
	ds_read_b128 v[0:3], v53 offset:1024
	s_waitcnt lgkmcnt(1)
	v_dot4c_i32_i8_e32 v26, v12, v4
	v_dot4c_i32_i8_e32 v30, v12, v5
	;; [unrolled: 1-line block ×16, first 2 shown]
	ds_read_b128 v[4:7], v54 offset:17408
	v_dot4c_i32_i8_e32 v29, v12, v8
	v_dot4c_i32_i8_e32 v33, v12, v9
	;; [unrolled: 1-line block ×16, first 2 shown]
	ds_read_b128 v[8:11], v54 offset:17664
	ds_read_b128 v[12:15], v53 offset:1280
	s_waitcnt lgkmcnt(2)
	v_dot4c_i32_i8_e32 v85, v0, v4
	v_dot4c_i32_i8_e32 v87, v0, v5
	;; [unrolled: 1-line block ×16, first 2 shown]
	s_waitcnt lgkmcnt(1)
	v_dot4c_i32_i8_e32 v82, v0, v8
	v_dot4c_i32_i8_e32 v83, v0, v9
	;; [unrolled: 1-line block ×16, first 2 shown]
	ds_read_b128 v[0:3], v53 offset:1536
	s_waitcnt lgkmcnt(1)
	v_dot4c_i32_i8_e32 v26, v12, v4
	v_dot4c_i32_i8_e32 v30, v12, v5
	;; [unrolled: 1-line block ×16, first 2 shown]
	ds_read_b128 v[4:7], v54 offset:17920
	v_dot4c_i32_i8_e32 v29, v12, v8
	v_dot4c_i32_i8_e32 v33, v12, v9
	;; [unrolled: 1-line block ×16, first 2 shown]
	ds_read_b128 v[8:11], v54 offset:18176
	ds_read_b128 v[12:15], v53 offset:1792
	s_waitcnt lgkmcnt(2)
	v_dot4c_i32_i8_e32 v85, v0, v4
	v_dot4c_i32_i8_e32 v87, v0, v5
	;; [unrolled: 1-line block ×16, first 2 shown]
	s_waitcnt lgkmcnt(1)
	v_dot4c_i32_i8_e32 v82, v0, v8
	v_dot4c_i32_i8_e32 v83, v0, v9
	;; [unrolled: 1-line block ×16, first 2 shown]
	ds_read_b128 v[0:3], v53 offset:2048
	s_waitcnt lgkmcnt(1)
	v_dot4c_i32_i8_e32 v26, v12, v4
	v_dot4c_i32_i8_e32 v30, v12, v5
	;; [unrolled: 1-line block ×16, first 2 shown]
	ds_read_b128 v[4:7], v54 offset:18432
	v_dot4c_i32_i8_e32 v29, v12, v8
	v_dot4c_i32_i8_e32 v33, v12, v9
	;; [unrolled: 1-line block ×16, first 2 shown]
	ds_read_b128 v[8:11], v54 offset:18688
	ds_read_b128 v[12:15], v53 offset:2304
	s_waitcnt lgkmcnt(2)
	v_dot4c_i32_i8_e32 v85, v0, v4
	v_dot4c_i32_i8_e32 v87, v0, v5
	;; [unrolled: 1-line block ×16, first 2 shown]
	s_waitcnt lgkmcnt(1)
	v_dot4c_i32_i8_e32 v82, v0, v8
	v_dot4c_i32_i8_e32 v83, v0, v9
	;; [unrolled: 1-line block ×16, first 2 shown]
	ds_read_b128 v[0:3], v53 offset:2560
	s_waitcnt lgkmcnt(1)
	v_dot4c_i32_i8_e32 v26, v12, v4
	v_dot4c_i32_i8_e32 v30, v12, v5
	;; [unrolled: 1-line block ×16, first 2 shown]
	ds_read_b128 v[4:7], v54 offset:18944
	v_dot4c_i32_i8_e32 v29, v12, v8
	v_dot4c_i32_i8_e32 v33, v12, v9
	v_dot4c_i32_i8_e32 v28, v12, v10
	v_dot4c_i32_i8_e32 v24, v12, v11
	v_dot4c_i32_i8_e32 v32, v13, v8
	v_dot4c_i32_i8_e32 v34, v13, v9
	v_dot4c_i32_i8_e32 v31, v13, v10
	v_dot4c_i32_i8_e32 v27, v13, v11
	v_dot4c_i32_i8_e32 v47, v14, v8
	v_dot4c_i32_i8_e32 v49, v14, v9
	v_dot4c_i32_i8_e32 v46, v14, v10
	v_dot4c_i32_i8_e32 v41, v14, v11
	v_dot4c_i32_i8_e32 v45, v15, v8
	v_dot4c_i32_i8_e32 v48, v15, v9
	v_dot4c_i32_i8_e32 v44, v15, v10
	v_dot4c_i32_i8_e32 v22, v15, v11
	ds_read_b128 v[8:11], v54 offset:19200
	ds_read_b128 v[12:15], v53 offset:2816
	s_waitcnt lgkmcnt(2)
	v_dot4c_i32_i8_e32 v85, v0, v4
	v_dot4c_i32_i8_e32 v87, v0, v5
	;; [unrolled: 1-line block ×16, first 2 shown]
	s_waitcnt lgkmcnt(1)
	v_dot4c_i32_i8_e32 v82, v0, v8
	v_dot4c_i32_i8_e32 v83, v0, v9
	;; [unrolled: 1-line block ×16, first 2 shown]
	ds_read_b128 v[0:3], v53 offset:3072
	s_waitcnt lgkmcnt(1)
	v_dot4c_i32_i8_e32 v26, v12, v4
	v_dot4c_i32_i8_e32 v30, v12, v5
	;; [unrolled: 1-line block ×16, first 2 shown]
	ds_read_b128 v[4:7], v54 offset:19456
	v_dot4c_i32_i8_e32 v29, v12, v8
	v_dot4c_i32_i8_e32 v33, v12, v9
	;; [unrolled: 1-line block ×16, first 2 shown]
	ds_read_b128 v[8:11], v54 offset:19712
	ds_read_b128 v[12:15], v53 offset:3328
	s_waitcnt lgkmcnt(2)
	v_dot4c_i32_i8_e32 v85, v0, v4
	v_dot4c_i32_i8_e32 v87, v0, v5
	;; [unrolled: 1-line block ×16, first 2 shown]
	s_waitcnt lgkmcnt(1)
	v_dot4c_i32_i8_e32 v82, v0, v8
	v_dot4c_i32_i8_e32 v83, v0, v9
	;; [unrolled: 1-line block ×16, first 2 shown]
	ds_read_b128 v[0:3], v53 offset:3584
	s_waitcnt lgkmcnt(1)
	v_dot4c_i32_i8_e32 v26, v12, v4
	v_dot4c_i32_i8_e32 v30, v12, v5
	;; [unrolled: 1-line block ×16, first 2 shown]
	ds_read_b128 v[4:7], v54 offset:19968
	v_dot4c_i32_i8_e32 v29, v12, v8
	v_dot4c_i32_i8_e32 v33, v12, v9
	;; [unrolled: 1-line block ×16, first 2 shown]
	ds_read_b128 v[8:11], v54 offset:20224
	ds_read_b128 v[12:15], v53 offset:3840
	s_waitcnt lgkmcnt(2)
	v_dot4c_i32_i8_e32 v85, v0, v4
	v_dot4c_i32_i8_e32 v87, v0, v5
	;; [unrolled: 1-line block ×16, first 2 shown]
	s_waitcnt lgkmcnt(1)
	v_dot4c_i32_i8_e32 v82, v0, v8
	v_dot4c_i32_i8_e32 v83, v0, v9
	v_dot4c_i32_i8_e32 v81, v0, v10
	v_dot4c_i32_i8_e32 v80, v0, v11
	v_dot4c_i32_i8_e32 v77, v1, v8
	v_dot4c_i32_i8_e32 v79, v1, v9
	v_dot4c_i32_i8_e32 v76, v1, v10
	v_dot4c_i32_i8_e32 v73, v1, v11
	v_dot4c_i32_i8_e32 v66, v2, v8
	v_dot4c_i32_i8_e32 v67, v2, v9
	v_dot4c_i32_i8_e32 v65, v2, v10
	v_dot4c_i32_i8_e32 v64, v2, v11
	v_dot4c_i32_i8_e32 v62, v3, v8
	v_dot4c_i32_i8_e32 v63, v3, v9
	v_dot4c_i32_i8_e32 v61, v3, v10
	v_dot4c_i32_i8_e32 v59, v3, v11
	ds_read_b128 v[0:3], v53 offset:4096
	s_waitcnt lgkmcnt(1)
	v_dot4c_i32_i8_e32 v26, v12, v4
	v_dot4c_i32_i8_e32 v30, v12, v5
	;; [unrolled: 1-line block ×16, first 2 shown]
	ds_read_b128 v[4:7], v54 offset:20480
	v_dot4c_i32_i8_e32 v29, v12, v8
	v_dot4c_i32_i8_e32 v33, v12, v9
	;; [unrolled: 1-line block ×16, first 2 shown]
	ds_read_b128 v[8:11], v54 offset:20736
	ds_read_b128 v[12:15], v53 offset:4352
	s_waitcnt lgkmcnt(2)
	v_dot4c_i32_i8_e32 v85, v0, v4
	v_dot4c_i32_i8_e32 v87, v0, v5
	;; [unrolled: 1-line block ×16, first 2 shown]
	s_waitcnt lgkmcnt(1)
	v_dot4c_i32_i8_e32 v82, v0, v8
	v_dot4c_i32_i8_e32 v83, v0, v9
	;; [unrolled: 1-line block ×16, first 2 shown]
	ds_read_b128 v[0:3], v53 offset:4608
	s_waitcnt lgkmcnt(1)
	v_dot4c_i32_i8_e32 v26, v12, v4
	v_dot4c_i32_i8_e32 v30, v12, v5
	;; [unrolled: 1-line block ×16, first 2 shown]
	ds_read_b128 v[4:7], v54 offset:20992
	v_dot4c_i32_i8_e32 v29, v12, v8
	v_dot4c_i32_i8_e32 v33, v12, v9
	;; [unrolled: 1-line block ×16, first 2 shown]
	ds_read_b128 v[8:11], v54 offset:21248
	ds_read_b128 v[12:15], v53 offset:4864
	s_waitcnt lgkmcnt(2)
	v_dot4c_i32_i8_e32 v85, v0, v4
	v_dot4c_i32_i8_e32 v87, v0, v5
	;; [unrolled: 1-line block ×16, first 2 shown]
	s_waitcnt lgkmcnt(1)
	v_dot4c_i32_i8_e32 v82, v0, v8
	v_dot4c_i32_i8_e32 v83, v0, v9
	;; [unrolled: 1-line block ×16, first 2 shown]
	ds_read_b128 v[0:3], v53 offset:5120
	s_waitcnt lgkmcnt(1)
	v_dot4c_i32_i8_e32 v26, v12, v4
	v_dot4c_i32_i8_e32 v30, v12, v5
	;; [unrolled: 1-line block ×16, first 2 shown]
	ds_read_b128 v[4:7], v54 offset:21504
	v_dot4c_i32_i8_e32 v29, v12, v8
	v_dot4c_i32_i8_e32 v33, v12, v9
	;; [unrolled: 1-line block ×16, first 2 shown]
	ds_read_b128 v[8:11], v54 offset:21760
	ds_read_b128 v[12:15], v53 offset:5376
	s_waitcnt lgkmcnt(2)
	v_dot4c_i32_i8_e32 v85, v0, v4
	v_dot4c_i32_i8_e32 v87, v0, v5
	;; [unrolled: 1-line block ×16, first 2 shown]
	s_waitcnt lgkmcnt(1)
	v_dot4c_i32_i8_e32 v82, v0, v8
	v_dot4c_i32_i8_e32 v83, v0, v9
	;; [unrolled: 1-line block ×16, first 2 shown]
	ds_read_b128 v[0:3], v53 offset:5632
	s_waitcnt lgkmcnt(1)
	v_dot4c_i32_i8_e32 v26, v12, v4
	v_dot4c_i32_i8_e32 v30, v12, v5
	;; [unrolled: 1-line block ×16, first 2 shown]
	ds_read_b128 v[4:7], v54 offset:22016
	v_dot4c_i32_i8_e32 v29, v12, v8
	v_dot4c_i32_i8_e32 v33, v12, v9
	;; [unrolled: 1-line block ×16, first 2 shown]
	ds_read_b128 v[8:11], v54 offset:22272
	ds_read_b128 v[12:15], v53 offset:5888
	s_waitcnt lgkmcnt(2)
	v_dot4c_i32_i8_e32 v85, v0, v4
	v_dot4c_i32_i8_e32 v87, v0, v5
	;; [unrolled: 1-line block ×16, first 2 shown]
	s_waitcnt lgkmcnt(1)
	v_dot4c_i32_i8_e32 v82, v0, v8
	v_dot4c_i32_i8_e32 v83, v0, v9
	;; [unrolled: 1-line block ×16, first 2 shown]
	ds_read_b128 v[0:3], v53 offset:6144
	s_waitcnt lgkmcnt(1)
	v_dot4c_i32_i8_e32 v26, v12, v4
	v_dot4c_i32_i8_e32 v30, v12, v5
	;; [unrolled: 1-line block ×16, first 2 shown]
	ds_read_b128 v[4:7], v54 offset:22528
	v_dot4c_i32_i8_e32 v29, v12, v8
	v_dot4c_i32_i8_e32 v33, v12, v9
	;; [unrolled: 1-line block ×16, first 2 shown]
	ds_read_b128 v[8:11], v54 offset:22784
	ds_read_b128 v[12:15], v53 offset:6400
	s_waitcnt lgkmcnt(2)
	v_dot4c_i32_i8_e32 v85, v0, v4
	v_dot4c_i32_i8_e32 v87, v0, v5
	;; [unrolled: 1-line block ×16, first 2 shown]
	s_waitcnt lgkmcnt(1)
	v_dot4c_i32_i8_e32 v82, v0, v8
	v_dot4c_i32_i8_e32 v83, v0, v9
	;; [unrolled: 1-line block ×16, first 2 shown]
	ds_read_b128 v[0:3], v53 offset:6656
	s_waitcnt lgkmcnt(1)
	v_dot4c_i32_i8_e32 v26, v12, v4
	v_dot4c_i32_i8_e32 v30, v12, v5
	;; [unrolled: 1-line block ×16, first 2 shown]
	ds_read_b128 v[4:7], v54 offset:23040
	v_dot4c_i32_i8_e32 v29, v12, v8
	v_dot4c_i32_i8_e32 v33, v12, v9
	;; [unrolled: 1-line block ×16, first 2 shown]
	ds_read_b128 v[8:11], v54 offset:23296
	ds_read_b128 v[12:15], v53 offset:6912
	s_waitcnt lgkmcnt(2)
	v_dot4c_i32_i8_e32 v85, v0, v4
	v_dot4c_i32_i8_e32 v87, v0, v5
	;; [unrolled: 1-line block ×16, first 2 shown]
	s_waitcnt lgkmcnt(1)
	v_dot4c_i32_i8_e32 v82, v0, v8
	v_dot4c_i32_i8_e32 v83, v0, v9
	v_dot4c_i32_i8_e32 v81, v0, v10
	v_dot4c_i32_i8_e32 v80, v0, v11
	v_dot4c_i32_i8_e32 v77, v1, v8
	v_dot4c_i32_i8_e32 v79, v1, v9
	v_dot4c_i32_i8_e32 v76, v1, v10
	v_dot4c_i32_i8_e32 v73, v1, v11
	v_dot4c_i32_i8_e32 v66, v2, v8
	v_dot4c_i32_i8_e32 v67, v2, v9
	v_dot4c_i32_i8_e32 v65, v2, v10
	v_dot4c_i32_i8_e32 v64, v2, v11
	v_dot4c_i32_i8_e32 v62, v3, v8
	v_dot4c_i32_i8_e32 v63, v3, v9
	v_dot4c_i32_i8_e32 v61, v3, v10
	v_dot4c_i32_i8_e32 v59, v3, v11
	ds_read_b128 v[0:3], v53 offset:7168
	s_waitcnt lgkmcnt(1)
	v_dot4c_i32_i8_e32 v26, v12, v4
	v_dot4c_i32_i8_e32 v30, v12, v5
	;; [unrolled: 1-line block ×16, first 2 shown]
	ds_read_b128 v[4:7], v54 offset:23552
	v_dot4c_i32_i8_e32 v29, v12, v8
	v_dot4c_i32_i8_e32 v33, v12, v9
	;; [unrolled: 1-line block ×16, first 2 shown]
	ds_read_b128 v[8:11], v54 offset:23808
	ds_read_b128 v[12:15], v53 offset:7424
	s_waitcnt lgkmcnt(2)
	v_dot4c_i32_i8_e32 v85, v0, v4
	v_dot4c_i32_i8_e32 v87, v0, v5
	;; [unrolled: 1-line block ×16, first 2 shown]
	s_waitcnt lgkmcnt(1)
	v_dot4c_i32_i8_e32 v82, v0, v8
	v_dot4c_i32_i8_e32 v83, v0, v9
	;; [unrolled: 1-line block ×16, first 2 shown]
	ds_read_b128 v[0:3], v53 offset:7680
	s_waitcnt lgkmcnt(1)
	v_dot4c_i32_i8_e32 v26, v12, v4
	v_dot4c_i32_i8_e32 v30, v12, v5
	;; [unrolled: 1-line block ×16, first 2 shown]
	ds_read_b128 v[4:7], v54 offset:24064
	v_dot4c_i32_i8_e32 v29, v12, v8
	v_dot4c_i32_i8_e32 v33, v12, v9
	;; [unrolled: 1-line block ×16, first 2 shown]
	ds_read_b128 v[8:11], v54 offset:24320
	ds_read_b128 v[12:15], v53 offset:7936
	s_waitcnt lgkmcnt(2)
	v_dot4c_i32_i8_e32 v87, v0, v5
	v_dot4c_i32_i8_e32 v86, v0, v6
	;; [unrolled: 1-line block ×12, first 2 shown]
	s_waitcnt lgkmcnt(1)
	v_dot4c_i32_i8_e32 v82, v0, v8
	v_dot4c_i32_i8_e32 v83, v0, v9
	;; [unrolled: 1-line block ×12, first 2 shown]
	v_add_u32_e32 v0, s0, v21
	v_lshlrev_b32_e32 v1, 8, v87
	v_lshlrev_b32_e32 v2, 16, v86
	s_mov_b32 s0, 0x40c0c00
	v_dot4c_i32_i8_e32 v58, v3, v4
	v_dot4c_i32_i8_e32 v60, v3, v5
	;; [unrolled: 1-line block ×8, first 2 shown]
	v_mul_lo_u32 v0, v0, s3
	v_and_b32_e32 v1, 0xff00, v1
	v_and_b32_e32 v2, 0xff0000, v2
	v_perm_b32 v3, v84, v85, s0
	v_add3_u32 v0, s1, v20, v0
	v_or3_b32 v1, v3, v1, v2
	buffer_store_dword v1, v0, s[12:15], 0 offen
	v_lshlrev_b32_e32 v1, 8, v83
	v_lshlrev_b32_e32 v2, 16, v81
	v_and_b32_e32 v1, 0xff00, v1
	v_and_b32_e32 v2, 0xff0000, v2
	v_perm_b32 v3, v80, v82, s0
	v_or3_b32 v1, v3, v1, v2
	v_lshlrev_b32_e32 v2, 8, v79
	v_lshlrev_b32_e32 v3, 16, v76
	s_waitcnt lgkmcnt(0)
	v_dot4c_i32_i8_e32 v26, v12, v4
	v_dot4c_i32_i8_e32 v40, v13, v4
	;; [unrolled: 1-line block ×4, first 2 shown]
	buffer_store_dword v1, v0, s[12:15], 0 offen offset:64
	v_add_u32_e32 v0, s3, v0
	v_and_b32_e32 v2, 0xff00, v2
	v_and_b32_e32 v3, 0xff0000, v3
	v_perm_b32 v4, v73, v77, s0
	v_add_u32_e32 v1, 64, v0
	v_or3_b32 v2, v4, v2, v3
	buffer_store_dword v2, v1, s[12:15], 0 offen
	v_lshlrev_b32_e32 v1, 8, v78
	v_lshlrev_b32_e32 v2, 16, v74
	v_and_b32_e32 v1, 0xff00, v1
	v_and_b32_e32 v2, 0xff0000, v2
	v_perm_b32 v3, v72, v75, s0
	v_or3_b32 v1, v3, v1, v2
	buffer_store_dword v1, v0, s[12:15], 0 offen
	v_lshlrev_b32_e32 v1, 8, v71
	v_lshlrev_b32_e32 v2, 16, v69
	v_and_b32_e32 v1, 0xff00, v1
	v_and_b32_e32 v2, 0xff0000, v2
	v_perm_b32 v3, v68, v70, s0
	v_or3_b32 v1, v3, v1, v2
	v_lshlrev_b32_e32 v2, 8, v67
	v_lshlrev_b32_e32 v3, 16, v65
	v_and_b32_e32 v2, 0xff00, v2
	v_and_b32_e32 v3, 0xff0000, v3
	v_perm_b32 v4, v64, v66, s0
	v_add_u32_e32 v0, s3, v0
	v_or3_b32 v2, v4, v2, v3
	v_lshlrev_b32_e32 v3, 8, v63
	v_lshlrev_b32_e32 v4, 16, v61
	v_dot4c_i32_i8_e32 v30, v12, v5
	v_dot4c_i32_i8_e32 v43, v13, v5
	;; [unrolled: 1-line block ×4, first 2 shown]
	buffer_store_dword v1, v0, s[12:15], 0 offen
	v_add_u32_e32 v1, 64, v0
	v_and_b32_e32 v3, 0xff00, v3
	v_and_b32_e32 v4, 0xff0000, v4
	v_perm_b32 v5, v59, v62, s0
	buffer_store_dword v2, v0, s[12:15], 0 offen offset:64
	v_add_u32_e32 v2, s3, v1
	v_or3_b32 v3, v5, v3, v4
	buffer_store_dword v3, v2, s[12:15], 0 offen
	v_lshlrev_b32_e32 v2, 8, v60
	v_lshlrev_b32_e32 v3, 16, v57
	v_and_b32_e32 v2, 0xff00, v2
	v_and_b32_e32 v3, 0xff0000, v3
	v_perm_b32 v4, v56, v58, s0
	v_dot4c_i32_i8_e32 v51, v15, v6
	v_add_u32_e32 v0, s3, v0
	v_or3_b32 v2, v4, v2, v3
	v_dot4c_i32_i8_e32 v50, v15, v7
	buffer_store_dword v2, v0, s[12:15], 0 offen
	v_lshlrev_b32_e32 v2, 8, v55
	v_lshlrev_b32_e32 v3, 16, v51
	s_lshl_b32 s1, s3, 6
	v_and_b32_e32 v2, 0xff00, v2
	v_and_b32_e32 v3, 0xff0000, v3
	v_perm_b32 v4, v50, v52, s0
	v_dot4c_i32_i8_e32 v48, v15, v9
	v_dot4c_i32_i8_e32 v44, v15, v10
	v_add_u32_e32 v0, s1, v0
	v_or3_b32 v2, v4, v2, v3
	v_dot4c_i32_i8_e32 v45, v15, v8
	v_dot4c_i32_i8_e32 v22, v15, v11
	buffer_store_dword v2, v0, s[12:15], 0 offen
	v_lshlrev_b32_e32 v2, 8, v48
	v_lshlrev_b32_e32 v3, 16, v44
	v_and_b32_e32 v2, 0xff00, v2
	v_and_b32_e32 v3, 0xff0000, v3
	v_perm_b32 v4, v22, v45, s0
	v_dot4c_i32_i8_e32 v49, v14, v9
	v_dot4c_i32_i8_e32 v46, v14, v10
	v_or3_b32 v2, v4, v2, v3
	v_dot4c_i32_i8_e32 v47, v14, v8
	v_dot4c_i32_i8_e32 v41, v14, v11
	buffer_store_dword v2, v0, s[12:15], 0 offen offset:64
	v_add_u32_e32 v0, s1, v1
	v_lshlrev_b32_e32 v1, 8, v49
	v_lshlrev_b32_e32 v2, 16, v46
	v_and_b32_e32 v1, 0xff00, v1
	v_and_b32_e32 v2, 0xff0000, v2
	v_perm_b32 v3, v41, v47, s0
	v_dot4c_i32_i8_e32 v37, v14, v6
	v_or3_b32 v1, v3, v1, v2
	v_dot4c_i32_i8_e32 v35, v14, v7
	buffer_store_dword v1, v0, s[12:15], 0 offen
	v_lshlrev_b32_e32 v1, 8, v42
	v_lshlrev_b32_e32 v2, 16, v37
	v_and_b32_e32 v1, 0xff00, v1
	v_and_b32_e32 v2, 0xff0000, v2
	v_perm_b32 v3, v35, v38, s0
	v_dot4c_i32_i8_e32 v39, v13, v6
	v_subrev_u32_e32 v0, 64, v0
	v_or3_b32 v1, v3, v1, v2
	v_dot4c_i32_i8_e32 v36, v13, v7
	buffer_store_dword v1, v0, s[12:15], 0 offen
	v_lshlrev_b32_e32 v1, 8, v43
	v_lshlrev_b32_e32 v2, 16, v39
	v_and_b32_e32 v1, 0xff00, v1
	v_and_b32_e32 v2, 0xff0000, v2
	v_perm_b32 v3, v36, v40, s0
	v_dot4c_i32_i8_e32 v34, v13, v9
	v_dot4c_i32_i8_e32 v31, v13, v10
	v_subrev_u32_e32 v0, s3, v0
	v_or3_b32 v1, v3, v1, v2
	v_dot4c_i32_i8_e32 v32, v13, v8
	v_dot4c_i32_i8_e32 v27, v13, v11
	buffer_store_dword v1, v0, s[12:15], 0 offen
	v_lshlrev_b32_e32 v1, 8, v34
	v_lshlrev_b32_e32 v2, 16, v31
	v_dot4c_i32_i8_e32 v33, v12, v9
	v_dot4c_i32_i8_e32 v28, v12, v10
	v_and_b32_e32 v1, 0xff00, v1
	v_and_b32_e32 v2, 0xff0000, v2
	v_perm_b32 v3, v27, v32, s0
	v_dot4c_i32_i8_e32 v29, v12, v8
	v_dot4c_i32_i8_e32 v24, v12, v11
	v_or3_b32 v1, v3, v1, v2
	v_lshlrev_b32_e32 v2, 8, v33
	v_lshlrev_b32_e32 v3, 16, v28
	buffer_store_dword v1, v0, s[12:15], 0 offen offset:64
	v_subrev_u32_e32 v0, s3, v0
	v_and_b32_e32 v2, 0xff00, v2
	v_and_b32_e32 v3, 0xff0000, v3
	v_perm_b32 v4, v24, v29, s0
	v_dot4c_i32_i8_e32 v25, v12, v6
	v_add_u32_e32 v1, 64, v0
	v_or3_b32 v2, v4, v2, v3
	v_dot4c_i32_i8_e32 v23, v12, v7
	buffer_store_dword v2, v1, s[12:15], 0 offen
	v_lshlrev_b32_e32 v1, 8, v30
	v_lshlrev_b32_e32 v2, 16, v25
	v_and_b32_e32 v1, 0xff00, v1
	v_and_b32_e32 v2, 0xff0000, v2
	v_perm_b32 v3, v23, v26, s0
	v_or3_b32 v1, v3, v1, v2
	buffer_store_dword v1, v0, s[12:15], 0 offen
	s_endpgm
	.section	.rodata,"a",@progbits
	.p2align	6, 0x0
	.amdhsa_kernel _ZN2ck19kernel_gemm_dl_v1r3INS_28GridwiseGemmDl_km_kn_mn_v1r3ILi256EaiaLNS_25InMemoryDataOperationEnumE0ENS_16TensorDescriptorINS_5TupleIJNS_5EmbedINS4_IJiiEEENS4_IJNS_17integral_constantIiLi1EEEiEEELb0EEENS_7UnMergeINS4_IJiNS7_IiLi4EEEEEELb0EEENS_11PassThroughIiEEEEENS4_IJNS_8SequenceIJLi0EEEENSI_IJLi2EEEENSI_IJLi1EEEEEEENS4_IJNSI_IJLi1ELi2EEEENSI_IJLi3ELi4EEEENSI_IJLi5EEEEEEENSI_IJLi3ELi5ELi4EEEElEENS3_INS4_IJNS5_IS6_NS4_IJiS8_EEELb0EEESE_SG_EEENS4_IJSJ_SL_SK_EEESQ_SR_lEENS3_INS4_IJSU_SG_SG_EEESW_NS4_IJSN_NSI_IJLi3EEEENSI_IJLi4EEEEEEESO_lEELi128ELi128ELi16ELi4ELi4ELi4ELi1ENSI_IJLi8ELi2EEEES13_NSI_IJLi2ELi1ELi4ELi4EEEENSI_IJLi8ELi1ELi32ELi1EEEENSI_IJLi0ELi3ELi1ELi2EEEES16_NSI_IJLi1ELi1ELi4ELi1EEEES16_NSI_IJLi1ELi1ELi4ELi4EEEES14_S15_S16_S16_S17_S16_S18_NSI_IJLi0ELi1ELi2ELi3ELi4ELi5EEEELi5ELi4EEEaaNS3_INS4_IJSA_SE_SG_SG_NSB_INS4_IJiNS7_IiLi128EEEEEELb0EEENSF_ISC_EEEEENS4_IJSJ_SK_SL_SZ_SP_S10_EEENS4_IJSN_SO_SP_NSI_IJLi6EEEENSI_IJLi7ELi8EEEENSI_IJLi9EEEEEEENSI_IJLi6ELi7ELi8ELi9EEEElEENS3_INS4_IJSU_SE_SG_SG_S1D_S1E_EEENS4_IJSJ_SL_SK_SZ_SP_S10_EEES1K_S1L_lEENS3_INS4_IJSU_SG_SG_NSB_INS4_IJiNS7_IiLi2EEENS7_IiLi64EEEEEELb0EEES1T_EEENS4_IJSJ_SL_SK_SZ_S10_EEENS4_IJSN_SZ_S10_NSI_IJLi5ELi6ELi7EEEENSI_IJLi8ELi9ELi10EEEEEEENSI_IJLi5ELi6ELi7ELi8ELi9ELi10EEEElEENS_31BlockToCTileMap_M00_N00_M01_N01ILi128ELi128ES12_Lb0EEELb1ELb0EEEvPKT0_S25_PT1_T2_T3_T4_T5_
		.amdhsa_group_segment_fixed_size 32768
		.amdhsa_private_segment_fixed_size 0
		.amdhsa_kernarg_size 328
		.amdhsa_user_sgpr_count 2
		.amdhsa_user_sgpr_dispatch_ptr 0
		.amdhsa_user_sgpr_queue_ptr 0
		.amdhsa_user_sgpr_kernarg_segment_ptr 1
		.amdhsa_user_sgpr_dispatch_id 0
		.amdhsa_user_sgpr_kernarg_preload_length 0
		.amdhsa_user_sgpr_kernarg_preload_offset 0
		.amdhsa_user_sgpr_private_segment_size 0
		.amdhsa_uses_dynamic_stack 0
		.amdhsa_enable_private_segment 0
		.amdhsa_system_sgpr_workgroup_id_x 1
		.amdhsa_system_sgpr_workgroup_id_y 0
		.amdhsa_system_sgpr_workgroup_id_z 0
		.amdhsa_system_sgpr_workgroup_info 0
		.amdhsa_system_vgpr_workitem_id 0
		.amdhsa_next_free_vgpr 140
		.amdhsa_next_free_sgpr 96
		.amdhsa_accum_offset 140
		.amdhsa_reserve_vcc 1
		.amdhsa_float_round_mode_32 0
		.amdhsa_float_round_mode_16_64 0
		.amdhsa_float_denorm_mode_32 3
		.amdhsa_float_denorm_mode_16_64 3
		.amdhsa_dx10_clamp 1
		.amdhsa_ieee_mode 1
		.amdhsa_fp16_overflow 0
		.amdhsa_tg_split 0
		.amdhsa_exception_fp_ieee_invalid_op 0
		.amdhsa_exception_fp_denorm_src 0
		.amdhsa_exception_fp_ieee_div_zero 0
		.amdhsa_exception_fp_ieee_overflow 0
		.amdhsa_exception_fp_ieee_underflow 0
		.amdhsa_exception_fp_ieee_inexact 0
		.amdhsa_exception_int_div_zero 0
	.end_amdhsa_kernel
	.section	.text._ZN2ck19kernel_gemm_dl_v1r3INS_28GridwiseGemmDl_km_kn_mn_v1r3ILi256EaiaLNS_25InMemoryDataOperationEnumE0ENS_16TensorDescriptorINS_5TupleIJNS_5EmbedINS4_IJiiEEENS4_IJNS_17integral_constantIiLi1EEEiEEELb0EEENS_7UnMergeINS4_IJiNS7_IiLi4EEEEEELb0EEENS_11PassThroughIiEEEEENS4_IJNS_8SequenceIJLi0EEEENSI_IJLi2EEEENSI_IJLi1EEEEEEENS4_IJNSI_IJLi1ELi2EEEENSI_IJLi3ELi4EEEENSI_IJLi5EEEEEEENSI_IJLi3ELi5ELi4EEEElEENS3_INS4_IJNS5_IS6_NS4_IJiS8_EEELb0EEESE_SG_EEENS4_IJSJ_SL_SK_EEESQ_SR_lEENS3_INS4_IJSU_SG_SG_EEESW_NS4_IJSN_NSI_IJLi3EEEENSI_IJLi4EEEEEEESO_lEELi128ELi128ELi16ELi4ELi4ELi4ELi1ENSI_IJLi8ELi2EEEES13_NSI_IJLi2ELi1ELi4ELi4EEEENSI_IJLi8ELi1ELi32ELi1EEEENSI_IJLi0ELi3ELi1ELi2EEEES16_NSI_IJLi1ELi1ELi4ELi1EEEES16_NSI_IJLi1ELi1ELi4ELi4EEEES14_S15_S16_S16_S17_S16_S18_NSI_IJLi0ELi1ELi2ELi3ELi4ELi5EEEELi5ELi4EEEaaNS3_INS4_IJSA_SE_SG_SG_NSB_INS4_IJiNS7_IiLi128EEEEEELb0EEENSF_ISC_EEEEENS4_IJSJ_SK_SL_SZ_SP_S10_EEENS4_IJSN_SO_SP_NSI_IJLi6EEEENSI_IJLi7ELi8EEEENSI_IJLi9EEEEEEENSI_IJLi6ELi7ELi8ELi9EEEElEENS3_INS4_IJSU_SE_SG_SG_S1D_S1E_EEENS4_IJSJ_SL_SK_SZ_SP_S10_EEES1K_S1L_lEENS3_INS4_IJSU_SG_SG_NSB_INS4_IJiNS7_IiLi2EEENS7_IiLi64EEEEEELb0EEES1T_EEENS4_IJSJ_SL_SK_SZ_S10_EEENS4_IJSN_SZ_S10_NSI_IJLi5ELi6ELi7EEEENSI_IJLi8ELi9ELi10EEEEEEENSI_IJLi5ELi6ELi7ELi8ELi9ELi10EEEElEENS_31BlockToCTileMap_M00_N00_M01_N01ILi128ELi128ES12_Lb0EEELb1ELb0EEEvPKT0_S25_PT1_T2_T3_T4_T5_,"axG",@progbits,_ZN2ck19kernel_gemm_dl_v1r3INS_28GridwiseGemmDl_km_kn_mn_v1r3ILi256EaiaLNS_25InMemoryDataOperationEnumE0ENS_16TensorDescriptorINS_5TupleIJNS_5EmbedINS4_IJiiEEENS4_IJNS_17integral_constantIiLi1EEEiEEELb0EEENS_7UnMergeINS4_IJiNS7_IiLi4EEEEEELb0EEENS_11PassThroughIiEEEEENS4_IJNS_8SequenceIJLi0EEEENSI_IJLi2EEEENSI_IJLi1EEEEEEENS4_IJNSI_IJLi1ELi2EEEENSI_IJLi3ELi4EEEENSI_IJLi5EEEEEEENSI_IJLi3ELi5ELi4EEEElEENS3_INS4_IJNS5_IS6_NS4_IJiS8_EEELb0EEESE_SG_EEENS4_IJSJ_SL_SK_EEESQ_SR_lEENS3_INS4_IJSU_SG_SG_EEESW_NS4_IJSN_NSI_IJLi3EEEENSI_IJLi4EEEEEEESO_lEELi128ELi128ELi16ELi4ELi4ELi4ELi1ENSI_IJLi8ELi2EEEES13_NSI_IJLi2ELi1ELi4ELi4EEEENSI_IJLi8ELi1ELi32ELi1EEEENSI_IJLi0ELi3ELi1ELi2EEEES16_NSI_IJLi1ELi1ELi4ELi1EEEES16_NSI_IJLi1ELi1ELi4ELi4EEEES14_S15_S16_S16_S17_S16_S18_NSI_IJLi0ELi1ELi2ELi3ELi4ELi5EEEELi5ELi4EEEaaNS3_INS4_IJSA_SE_SG_SG_NSB_INS4_IJiNS7_IiLi128EEEEEELb0EEENSF_ISC_EEEEENS4_IJSJ_SK_SL_SZ_SP_S10_EEENS4_IJSN_SO_SP_NSI_IJLi6EEEENSI_IJLi7ELi8EEEENSI_IJLi9EEEEEEENSI_IJLi6ELi7ELi8ELi9EEEElEENS3_INS4_IJSU_SE_SG_SG_S1D_S1E_EEENS4_IJSJ_SL_SK_SZ_SP_S10_EEES1K_S1L_lEENS3_INS4_IJSU_SG_SG_NSB_INS4_IJiNS7_IiLi2EEENS7_IiLi64EEEEEELb0EEES1T_EEENS4_IJSJ_SL_SK_SZ_S10_EEENS4_IJSN_SZ_S10_NSI_IJLi5ELi6ELi7EEEENSI_IJLi8ELi9ELi10EEEEEEENSI_IJLi5ELi6ELi7ELi8ELi9ELi10EEEElEENS_31BlockToCTileMap_M00_N00_M01_N01ILi128ELi128ES12_Lb0EEELb1ELb0EEEvPKT0_S25_PT1_T2_T3_T4_T5_,comdat
.Lfunc_end2:
	.size	_ZN2ck19kernel_gemm_dl_v1r3INS_28GridwiseGemmDl_km_kn_mn_v1r3ILi256EaiaLNS_25InMemoryDataOperationEnumE0ENS_16TensorDescriptorINS_5TupleIJNS_5EmbedINS4_IJiiEEENS4_IJNS_17integral_constantIiLi1EEEiEEELb0EEENS_7UnMergeINS4_IJiNS7_IiLi4EEEEEELb0EEENS_11PassThroughIiEEEEENS4_IJNS_8SequenceIJLi0EEEENSI_IJLi2EEEENSI_IJLi1EEEEEEENS4_IJNSI_IJLi1ELi2EEEENSI_IJLi3ELi4EEEENSI_IJLi5EEEEEEENSI_IJLi3ELi5ELi4EEEElEENS3_INS4_IJNS5_IS6_NS4_IJiS8_EEELb0EEESE_SG_EEENS4_IJSJ_SL_SK_EEESQ_SR_lEENS3_INS4_IJSU_SG_SG_EEESW_NS4_IJSN_NSI_IJLi3EEEENSI_IJLi4EEEEEEESO_lEELi128ELi128ELi16ELi4ELi4ELi4ELi1ENSI_IJLi8ELi2EEEES13_NSI_IJLi2ELi1ELi4ELi4EEEENSI_IJLi8ELi1ELi32ELi1EEEENSI_IJLi0ELi3ELi1ELi2EEEES16_NSI_IJLi1ELi1ELi4ELi1EEEES16_NSI_IJLi1ELi1ELi4ELi4EEEES14_S15_S16_S16_S17_S16_S18_NSI_IJLi0ELi1ELi2ELi3ELi4ELi5EEEELi5ELi4EEEaaNS3_INS4_IJSA_SE_SG_SG_NSB_INS4_IJiNS7_IiLi128EEEEEELb0EEENSF_ISC_EEEEENS4_IJSJ_SK_SL_SZ_SP_S10_EEENS4_IJSN_SO_SP_NSI_IJLi6EEEENSI_IJLi7ELi8EEEENSI_IJLi9EEEEEEENSI_IJLi6ELi7ELi8ELi9EEEElEENS3_INS4_IJSU_SE_SG_SG_S1D_S1E_EEENS4_IJSJ_SL_SK_SZ_SP_S10_EEES1K_S1L_lEENS3_INS4_IJSU_SG_SG_NSB_INS4_IJiNS7_IiLi2EEENS7_IiLi64EEEEEELb0EEES1T_EEENS4_IJSJ_SL_SK_SZ_S10_EEENS4_IJSN_SZ_S10_NSI_IJLi5ELi6ELi7EEEENSI_IJLi8ELi9ELi10EEEEEEENSI_IJLi5ELi6ELi7ELi8ELi9ELi10EEEElEENS_31BlockToCTileMap_M00_N00_M01_N01ILi128ELi128ES12_Lb0EEELb1ELb0EEEvPKT0_S25_PT1_T2_T3_T4_T5_, .Lfunc_end2-_ZN2ck19kernel_gemm_dl_v1r3INS_28GridwiseGemmDl_km_kn_mn_v1r3ILi256EaiaLNS_25InMemoryDataOperationEnumE0ENS_16TensorDescriptorINS_5TupleIJNS_5EmbedINS4_IJiiEEENS4_IJNS_17integral_constantIiLi1EEEiEEELb0EEENS_7UnMergeINS4_IJiNS7_IiLi4EEEEEELb0EEENS_11PassThroughIiEEEEENS4_IJNS_8SequenceIJLi0EEEENSI_IJLi2EEEENSI_IJLi1EEEEEEENS4_IJNSI_IJLi1ELi2EEEENSI_IJLi3ELi4EEEENSI_IJLi5EEEEEEENSI_IJLi3ELi5ELi4EEEElEENS3_INS4_IJNS5_IS6_NS4_IJiS8_EEELb0EEESE_SG_EEENS4_IJSJ_SL_SK_EEESQ_SR_lEENS3_INS4_IJSU_SG_SG_EEESW_NS4_IJSN_NSI_IJLi3EEEENSI_IJLi4EEEEEEESO_lEELi128ELi128ELi16ELi4ELi4ELi4ELi1ENSI_IJLi8ELi2EEEES13_NSI_IJLi2ELi1ELi4ELi4EEEENSI_IJLi8ELi1ELi32ELi1EEEENSI_IJLi0ELi3ELi1ELi2EEEES16_NSI_IJLi1ELi1ELi4ELi1EEEES16_NSI_IJLi1ELi1ELi4ELi4EEEES14_S15_S16_S16_S17_S16_S18_NSI_IJLi0ELi1ELi2ELi3ELi4ELi5EEEELi5ELi4EEEaaNS3_INS4_IJSA_SE_SG_SG_NSB_INS4_IJiNS7_IiLi128EEEEEELb0EEENSF_ISC_EEEEENS4_IJSJ_SK_SL_SZ_SP_S10_EEENS4_IJSN_SO_SP_NSI_IJLi6EEEENSI_IJLi7ELi8EEEENSI_IJLi9EEEEEEENSI_IJLi6ELi7ELi8ELi9EEEElEENS3_INS4_IJSU_SE_SG_SG_S1D_S1E_EEENS4_IJSJ_SL_SK_SZ_SP_S10_EEES1K_S1L_lEENS3_INS4_IJSU_SG_SG_NSB_INS4_IJiNS7_IiLi2EEENS7_IiLi64EEEEEELb0EEES1T_EEENS4_IJSJ_SL_SK_SZ_S10_EEENS4_IJSN_SZ_S10_NSI_IJLi5ELi6ELi7EEEENSI_IJLi8ELi9ELi10EEEEEEENSI_IJLi5ELi6ELi7ELi8ELi9ELi10EEEElEENS_31BlockToCTileMap_M00_N00_M01_N01ILi128ELi128ES12_Lb0EEELb1ELb0EEEvPKT0_S25_PT1_T2_T3_T4_T5_
                                        ; -- End function
	.set _ZN2ck19kernel_gemm_dl_v1r3INS_28GridwiseGemmDl_km_kn_mn_v1r3ILi256EaiaLNS_25InMemoryDataOperationEnumE0ENS_16TensorDescriptorINS_5TupleIJNS_5EmbedINS4_IJiiEEENS4_IJNS_17integral_constantIiLi1EEEiEEELb0EEENS_7UnMergeINS4_IJiNS7_IiLi4EEEEEELb0EEENS_11PassThroughIiEEEEENS4_IJNS_8SequenceIJLi0EEEENSI_IJLi2EEEENSI_IJLi1EEEEEEENS4_IJNSI_IJLi1ELi2EEEENSI_IJLi3ELi4EEEENSI_IJLi5EEEEEEENSI_IJLi3ELi5ELi4EEEElEENS3_INS4_IJNS5_IS6_NS4_IJiS8_EEELb0EEESE_SG_EEENS4_IJSJ_SL_SK_EEESQ_SR_lEENS3_INS4_IJSU_SG_SG_EEESW_NS4_IJSN_NSI_IJLi3EEEENSI_IJLi4EEEEEEESO_lEELi128ELi128ELi16ELi4ELi4ELi4ELi1ENSI_IJLi8ELi2EEEES13_NSI_IJLi2ELi1ELi4ELi4EEEENSI_IJLi8ELi1ELi32ELi1EEEENSI_IJLi0ELi3ELi1ELi2EEEES16_NSI_IJLi1ELi1ELi4ELi1EEEES16_NSI_IJLi1ELi1ELi4ELi4EEEES14_S15_S16_S16_S17_S16_S18_NSI_IJLi0ELi1ELi2ELi3ELi4ELi5EEEELi5ELi4EEEaaNS3_INS4_IJSA_SE_SG_SG_NSB_INS4_IJiNS7_IiLi128EEEEEELb0EEENSF_ISC_EEEEENS4_IJSJ_SK_SL_SZ_SP_S10_EEENS4_IJSN_SO_SP_NSI_IJLi6EEEENSI_IJLi7ELi8EEEENSI_IJLi9EEEEEEENSI_IJLi6ELi7ELi8ELi9EEEElEENS3_INS4_IJSU_SE_SG_SG_S1D_S1E_EEENS4_IJSJ_SL_SK_SZ_SP_S10_EEES1K_S1L_lEENS3_INS4_IJSU_SG_SG_NSB_INS4_IJiNS7_IiLi2EEENS7_IiLi64EEEEEELb0EEES1T_EEENS4_IJSJ_SL_SK_SZ_S10_EEENS4_IJSN_SZ_S10_NSI_IJLi5ELi6ELi7EEEENSI_IJLi8ELi9ELi10EEEEEEENSI_IJLi5ELi6ELi7ELi8ELi9ELi10EEEElEENS_31BlockToCTileMap_M00_N00_M01_N01ILi128ELi128ES12_Lb0EEELb1ELb0EEEvPKT0_S25_PT1_T2_T3_T4_T5_.num_vgpr, 140
	.set _ZN2ck19kernel_gemm_dl_v1r3INS_28GridwiseGemmDl_km_kn_mn_v1r3ILi256EaiaLNS_25InMemoryDataOperationEnumE0ENS_16TensorDescriptorINS_5TupleIJNS_5EmbedINS4_IJiiEEENS4_IJNS_17integral_constantIiLi1EEEiEEELb0EEENS_7UnMergeINS4_IJiNS7_IiLi4EEEEEELb0EEENS_11PassThroughIiEEEEENS4_IJNS_8SequenceIJLi0EEEENSI_IJLi2EEEENSI_IJLi1EEEEEEENS4_IJNSI_IJLi1ELi2EEEENSI_IJLi3ELi4EEEENSI_IJLi5EEEEEEENSI_IJLi3ELi5ELi4EEEElEENS3_INS4_IJNS5_IS6_NS4_IJiS8_EEELb0EEESE_SG_EEENS4_IJSJ_SL_SK_EEESQ_SR_lEENS3_INS4_IJSU_SG_SG_EEESW_NS4_IJSN_NSI_IJLi3EEEENSI_IJLi4EEEEEEESO_lEELi128ELi128ELi16ELi4ELi4ELi4ELi1ENSI_IJLi8ELi2EEEES13_NSI_IJLi2ELi1ELi4ELi4EEEENSI_IJLi8ELi1ELi32ELi1EEEENSI_IJLi0ELi3ELi1ELi2EEEES16_NSI_IJLi1ELi1ELi4ELi1EEEES16_NSI_IJLi1ELi1ELi4ELi4EEEES14_S15_S16_S16_S17_S16_S18_NSI_IJLi0ELi1ELi2ELi3ELi4ELi5EEEELi5ELi4EEEaaNS3_INS4_IJSA_SE_SG_SG_NSB_INS4_IJiNS7_IiLi128EEEEEELb0EEENSF_ISC_EEEEENS4_IJSJ_SK_SL_SZ_SP_S10_EEENS4_IJSN_SO_SP_NSI_IJLi6EEEENSI_IJLi7ELi8EEEENSI_IJLi9EEEEEEENSI_IJLi6ELi7ELi8ELi9EEEElEENS3_INS4_IJSU_SE_SG_SG_S1D_S1E_EEENS4_IJSJ_SL_SK_SZ_SP_S10_EEES1K_S1L_lEENS3_INS4_IJSU_SG_SG_NSB_INS4_IJiNS7_IiLi2EEENS7_IiLi64EEEEEELb0EEES1T_EEENS4_IJSJ_SL_SK_SZ_S10_EEENS4_IJSN_SZ_S10_NSI_IJLi5ELi6ELi7EEEENSI_IJLi8ELi9ELi10EEEEEEENSI_IJLi5ELi6ELi7ELi8ELi9ELi10EEEElEENS_31BlockToCTileMap_M00_N00_M01_N01ILi128ELi128ES12_Lb0EEELb1ELb0EEEvPKT0_S25_PT1_T2_T3_T4_T5_.num_agpr, 0
	.set _ZN2ck19kernel_gemm_dl_v1r3INS_28GridwiseGemmDl_km_kn_mn_v1r3ILi256EaiaLNS_25InMemoryDataOperationEnumE0ENS_16TensorDescriptorINS_5TupleIJNS_5EmbedINS4_IJiiEEENS4_IJNS_17integral_constantIiLi1EEEiEEELb0EEENS_7UnMergeINS4_IJiNS7_IiLi4EEEEEELb0EEENS_11PassThroughIiEEEEENS4_IJNS_8SequenceIJLi0EEEENSI_IJLi2EEEENSI_IJLi1EEEEEEENS4_IJNSI_IJLi1ELi2EEEENSI_IJLi3ELi4EEEENSI_IJLi5EEEEEEENSI_IJLi3ELi5ELi4EEEElEENS3_INS4_IJNS5_IS6_NS4_IJiS8_EEELb0EEESE_SG_EEENS4_IJSJ_SL_SK_EEESQ_SR_lEENS3_INS4_IJSU_SG_SG_EEESW_NS4_IJSN_NSI_IJLi3EEEENSI_IJLi4EEEEEEESO_lEELi128ELi128ELi16ELi4ELi4ELi4ELi1ENSI_IJLi8ELi2EEEES13_NSI_IJLi2ELi1ELi4ELi4EEEENSI_IJLi8ELi1ELi32ELi1EEEENSI_IJLi0ELi3ELi1ELi2EEEES16_NSI_IJLi1ELi1ELi4ELi1EEEES16_NSI_IJLi1ELi1ELi4ELi4EEEES14_S15_S16_S16_S17_S16_S18_NSI_IJLi0ELi1ELi2ELi3ELi4ELi5EEEELi5ELi4EEEaaNS3_INS4_IJSA_SE_SG_SG_NSB_INS4_IJiNS7_IiLi128EEEEEELb0EEENSF_ISC_EEEEENS4_IJSJ_SK_SL_SZ_SP_S10_EEENS4_IJSN_SO_SP_NSI_IJLi6EEEENSI_IJLi7ELi8EEEENSI_IJLi9EEEEEEENSI_IJLi6ELi7ELi8ELi9EEEElEENS3_INS4_IJSU_SE_SG_SG_S1D_S1E_EEENS4_IJSJ_SL_SK_SZ_SP_S10_EEES1K_S1L_lEENS3_INS4_IJSU_SG_SG_NSB_INS4_IJiNS7_IiLi2EEENS7_IiLi64EEEEEELb0EEES1T_EEENS4_IJSJ_SL_SK_SZ_S10_EEENS4_IJSN_SZ_S10_NSI_IJLi5ELi6ELi7EEEENSI_IJLi8ELi9ELi10EEEEEEENSI_IJLi5ELi6ELi7ELi8ELi9ELi10EEEElEENS_31BlockToCTileMap_M00_N00_M01_N01ILi128ELi128ES12_Lb0EEELb1ELb0EEEvPKT0_S25_PT1_T2_T3_T4_T5_.numbered_sgpr, 40
	.set _ZN2ck19kernel_gemm_dl_v1r3INS_28GridwiseGemmDl_km_kn_mn_v1r3ILi256EaiaLNS_25InMemoryDataOperationEnumE0ENS_16TensorDescriptorINS_5TupleIJNS_5EmbedINS4_IJiiEEENS4_IJNS_17integral_constantIiLi1EEEiEEELb0EEENS_7UnMergeINS4_IJiNS7_IiLi4EEEEEELb0EEENS_11PassThroughIiEEEEENS4_IJNS_8SequenceIJLi0EEEENSI_IJLi2EEEENSI_IJLi1EEEEEEENS4_IJNSI_IJLi1ELi2EEEENSI_IJLi3ELi4EEEENSI_IJLi5EEEEEEENSI_IJLi3ELi5ELi4EEEElEENS3_INS4_IJNS5_IS6_NS4_IJiS8_EEELb0EEESE_SG_EEENS4_IJSJ_SL_SK_EEESQ_SR_lEENS3_INS4_IJSU_SG_SG_EEESW_NS4_IJSN_NSI_IJLi3EEEENSI_IJLi4EEEEEEESO_lEELi128ELi128ELi16ELi4ELi4ELi4ELi1ENSI_IJLi8ELi2EEEES13_NSI_IJLi2ELi1ELi4ELi4EEEENSI_IJLi8ELi1ELi32ELi1EEEENSI_IJLi0ELi3ELi1ELi2EEEES16_NSI_IJLi1ELi1ELi4ELi1EEEES16_NSI_IJLi1ELi1ELi4ELi4EEEES14_S15_S16_S16_S17_S16_S18_NSI_IJLi0ELi1ELi2ELi3ELi4ELi5EEEELi5ELi4EEEaaNS3_INS4_IJSA_SE_SG_SG_NSB_INS4_IJiNS7_IiLi128EEEEEELb0EEENSF_ISC_EEEEENS4_IJSJ_SK_SL_SZ_SP_S10_EEENS4_IJSN_SO_SP_NSI_IJLi6EEEENSI_IJLi7ELi8EEEENSI_IJLi9EEEEEEENSI_IJLi6ELi7ELi8ELi9EEEElEENS3_INS4_IJSU_SE_SG_SG_S1D_S1E_EEENS4_IJSJ_SL_SK_SZ_SP_S10_EEES1K_S1L_lEENS3_INS4_IJSU_SG_SG_NSB_INS4_IJiNS7_IiLi2EEENS7_IiLi64EEEEEELb0EEES1T_EEENS4_IJSJ_SL_SK_SZ_S10_EEENS4_IJSN_SZ_S10_NSI_IJLi5ELi6ELi7EEEENSI_IJLi8ELi9ELi10EEEEEEENSI_IJLi5ELi6ELi7ELi8ELi9ELi10EEEElEENS_31BlockToCTileMap_M00_N00_M01_N01ILi128ELi128ES12_Lb0EEELb1ELb0EEEvPKT0_S25_PT1_T2_T3_T4_T5_.num_named_barrier, 0
	.set _ZN2ck19kernel_gemm_dl_v1r3INS_28GridwiseGemmDl_km_kn_mn_v1r3ILi256EaiaLNS_25InMemoryDataOperationEnumE0ENS_16TensorDescriptorINS_5TupleIJNS_5EmbedINS4_IJiiEEENS4_IJNS_17integral_constantIiLi1EEEiEEELb0EEENS_7UnMergeINS4_IJiNS7_IiLi4EEEEEELb0EEENS_11PassThroughIiEEEEENS4_IJNS_8SequenceIJLi0EEEENSI_IJLi2EEEENSI_IJLi1EEEEEEENS4_IJNSI_IJLi1ELi2EEEENSI_IJLi3ELi4EEEENSI_IJLi5EEEEEEENSI_IJLi3ELi5ELi4EEEElEENS3_INS4_IJNS5_IS6_NS4_IJiS8_EEELb0EEESE_SG_EEENS4_IJSJ_SL_SK_EEESQ_SR_lEENS3_INS4_IJSU_SG_SG_EEESW_NS4_IJSN_NSI_IJLi3EEEENSI_IJLi4EEEEEEESO_lEELi128ELi128ELi16ELi4ELi4ELi4ELi1ENSI_IJLi8ELi2EEEES13_NSI_IJLi2ELi1ELi4ELi4EEEENSI_IJLi8ELi1ELi32ELi1EEEENSI_IJLi0ELi3ELi1ELi2EEEES16_NSI_IJLi1ELi1ELi4ELi1EEEES16_NSI_IJLi1ELi1ELi4ELi4EEEES14_S15_S16_S16_S17_S16_S18_NSI_IJLi0ELi1ELi2ELi3ELi4ELi5EEEELi5ELi4EEEaaNS3_INS4_IJSA_SE_SG_SG_NSB_INS4_IJiNS7_IiLi128EEEEEELb0EEENSF_ISC_EEEEENS4_IJSJ_SK_SL_SZ_SP_S10_EEENS4_IJSN_SO_SP_NSI_IJLi6EEEENSI_IJLi7ELi8EEEENSI_IJLi9EEEEEEENSI_IJLi6ELi7ELi8ELi9EEEElEENS3_INS4_IJSU_SE_SG_SG_S1D_S1E_EEENS4_IJSJ_SL_SK_SZ_SP_S10_EEES1K_S1L_lEENS3_INS4_IJSU_SG_SG_NSB_INS4_IJiNS7_IiLi2EEENS7_IiLi64EEEEEELb0EEES1T_EEENS4_IJSJ_SL_SK_SZ_S10_EEENS4_IJSN_SZ_S10_NSI_IJLi5ELi6ELi7EEEENSI_IJLi8ELi9ELi10EEEEEEENSI_IJLi5ELi6ELi7ELi8ELi9ELi10EEEElEENS_31BlockToCTileMap_M00_N00_M01_N01ILi128ELi128ES12_Lb0EEELb1ELb0EEEvPKT0_S25_PT1_T2_T3_T4_T5_.private_seg_size, 0
	.set _ZN2ck19kernel_gemm_dl_v1r3INS_28GridwiseGemmDl_km_kn_mn_v1r3ILi256EaiaLNS_25InMemoryDataOperationEnumE0ENS_16TensorDescriptorINS_5TupleIJNS_5EmbedINS4_IJiiEEENS4_IJNS_17integral_constantIiLi1EEEiEEELb0EEENS_7UnMergeINS4_IJiNS7_IiLi4EEEEEELb0EEENS_11PassThroughIiEEEEENS4_IJNS_8SequenceIJLi0EEEENSI_IJLi2EEEENSI_IJLi1EEEEEEENS4_IJNSI_IJLi1ELi2EEEENSI_IJLi3ELi4EEEENSI_IJLi5EEEEEEENSI_IJLi3ELi5ELi4EEEElEENS3_INS4_IJNS5_IS6_NS4_IJiS8_EEELb0EEESE_SG_EEENS4_IJSJ_SL_SK_EEESQ_SR_lEENS3_INS4_IJSU_SG_SG_EEESW_NS4_IJSN_NSI_IJLi3EEEENSI_IJLi4EEEEEEESO_lEELi128ELi128ELi16ELi4ELi4ELi4ELi1ENSI_IJLi8ELi2EEEES13_NSI_IJLi2ELi1ELi4ELi4EEEENSI_IJLi8ELi1ELi32ELi1EEEENSI_IJLi0ELi3ELi1ELi2EEEES16_NSI_IJLi1ELi1ELi4ELi1EEEES16_NSI_IJLi1ELi1ELi4ELi4EEEES14_S15_S16_S16_S17_S16_S18_NSI_IJLi0ELi1ELi2ELi3ELi4ELi5EEEELi5ELi4EEEaaNS3_INS4_IJSA_SE_SG_SG_NSB_INS4_IJiNS7_IiLi128EEEEEELb0EEENSF_ISC_EEEEENS4_IJSJ_SK_SL_SZ_SP_S10_EEENS4_IJSN_SO_SP_NSI_IJLi6EEEENSI_IJLi7ELi8EEEENSI_IJLi9EEEEEEENSI_IJLi6ELi7ELi8ELi9EEEElEENS3_INS4_IJSU_SE_SG_SG_S1D_S1E_EEENS4_IJSJ_SL_SK_SZ_SP_S10_EEES1K_S1L_lEENS3_INS4_IJSU_SG_SG_NSB_INS4_IJiNS7_IiLi2EEENS7_IiLi64EEEEEELb0EEES1T_EEENS4_IJSJ_SL_SK_SZ_S10_EEENS4_IJSN_SZ_S10_NSI_IJLi5ELi6ELi7EEEENSI_IJLi8ELi9ELi10EEEEEEENSI_IJLi5ELi6ELi7ELi8ELi9ELi10EEEElEENS_31BlockToCTileMap_M00_N00_M01_N01ILi128ELi128ES12_Lb0EEELb1ELb0EEEvPKT0_S25_PT1_T2_T3_T4_T5_.uses_vcc, 1
	.set _ZN2ck19kernel_gemm_dl_v1r3INS_28GridwiseGemmDl_km_kn_mn_v1r3ILi256EaiaLNS_25InMemoryDataOperationEnumE0ENS_16TensorDescriptorINS_5TupleIJNS_5EmbedINS4_IJiiEEENS4_IJNS_17integral_constantIiLi1EEEiEEELb0EEENS_7UnMergeINS4_IJiNS7_IiLi4EEEEEELb0EEENS_11PassThroughIiEEEEENS4_IJNS_8SequenceIJLi0EEEENSI_IJLi2EEEENSI_IJLi1EEEEEEENS4_IJNSI_IJLi1ELi2EEEENSI_IJLi3ELi4EEEENSI_IJLi5EEEEEEENSI_IJLi3ELi5ELi4EEEElEENS3_INS4_IJNS5_IS6_NS4_IJiS8_EEELb0EEESE_SG_EEENS4_IJSJ_SL_SK_EEESQ_SR_lEENS3_INS4_IJSU_SG_SG_EEESW_NS4_IJSN_NSI_IJLi3EEEENSI_IJLi4EEEEEEESO_lEELi128ELi128ELi16ELi4ELi4ELi4ELi1ENSI_IJLi8ELi2EEEES13_NSI_IJLi2ELi1ELi4ELi4EEEENSI_IJLi8ELi1ELi32ELi1EEEENSI_IJLi0ELi3ELi1ELi2EEEES16_NSI_IJLi1ELi1ELi4ELi1EEEES16_NSI_IJLi1ELi1ELi4ELi4EEEES14_S15_S16_S16_S17_S16_S18_NSI_IJLi0ELi1ELi2ELi3ELi4ELi5EEEELi5ELi4EEEaaNS3_INS4_IJSA_SE_SG_SG_NSB_INS4_IJiNS7_IiLi128EEEEEELb0EEENSF_ISC_EEEEENS4_IJSJ_SK_SL_SZ_SP_S10_EEENS4_IJSN_SO_SP_NSI_IJLi6EEEENSI_IJLi7ELi8EEEENSI_IJLi9EEEEEEENSI_IJLi6ELi7ELi8ELi9EEEElEENS3_INS4_IJSU_SE_SG_SG_S1D_S1E_EEENS4_IJSJ_SL_SK_SZ_SP_S10_EEES1K_S1L_lEENS3_INS4_IJSU_SG_SG_NSB_INS4_IJiNS7_IiLi2EEENS7_IiLi64EEEEEELb0EEES1T_EEENS4_IJSJ_SL_SK_SZ_S10_EEENS4_IJSN_SZ_S10_NSI_IJLi5ELi6ELi7EEEENSI_IJLi8ELi9ELi10EEEEEEENSI_IJLi5ELi6ELi7ELi8ELi9ELi10EEEElEENS_31BlockToCTileMap_M00_N00_M01_N01ILi128ELi128ES12_Lb0EEELb1ELb0EEEvPKT0_S25_PT1_T2_T3_T4_T5_.uses_flat_scratch, 0
	.set _ZN2ck19kernel_gemm_dl_v1r3INS_28GridwiseGemmDl_km_kn_mn_v1r3ILi256EaiaLNS_25InMemoryDataOperationEnumE0ENS_16TensorDescriptorINS_5TupleIJNS_5EmbedINS4_IJiiEEENS4_IJNS_17integral_constantIiLi1EEEiEEELb0EEENS_7UnMergeINS4_IJiNS7_IiLi4EEEEEELb0EEENS_11PassThroughIiEEEEENS4_IJNS_8SequenceIJLi0EEEENSI_IJLi2EEEENSI_IJLi1EEEEEEENS4_IJNSI_IJLi1ELi2EEEENSI_IJLi3ELi4EEEENSI_IJLi5EEEEEEENSI_IJLi3ELi5ELi4EEEElEENS3_INS4_IJNS5_IS6_NS4_IJiS8_EEELb0EEESE_SG_EEENS4_IJSJ_SL_SK_EEESQ_SR_lEENS3_INS4_IJSU_SG_SG_EEESW_NS4_IJSN_NSI_IJLi3EEEENSI_IJLi4EEEEEEESO_lEELi128ELi128ELi16ELi4ELi4ELi4ELi1ENSI_IJLi8ELi2EEEES13_NSI_IJLi2ELi1ELi4ELi4EEEENSI_IJLi8ELi1ELi32ELi1EEEENSI_IJLi0ELi3ELi1ELi2EEEES16_NSI_IJLi1ELi1ELi4ELi1EEEES16_NSI_IJLi1ELi1ELi4ELi4EEEES14_S15_S16_S16_S17_S16_S18_NSI_IJLi0ELi1ELi2ELi3ELi4ELi5EEEELi5ELi4EEEaaNS3_INS4_IJSA_SE_SG_SG_NSB_INS4_IJiNS7_IiLi128EEEEEELb0EEENSF_ISC_EEEEENS4_IJSJ_SK_SL_SZ_SP_S10_EEENS4_IJSN_SO_SP_NSI_IJLi6EEEENSI_IJLi7ELi8EEEENSI_IJLi9EEEEEEENSI_IJLi6ELi7ELi8ELi9EEEElEENS3_INS4_IJSU_SE_SG_SG_S1D_S1E_EEENS4_IJSJ_SL_SK_SZ_SP_S10_EEES1K_S1L_lEENS3_INS4_IJSU_SG_SG_NSB_INS4_IJiNS7_IiLi2EEENS7_IiLi64EEEEEELb0EEES1T_EEENS4_IJSJ_SL_SK_SZ_S10_EEENS4_IJSN_SZ_S10_NSI_IJLi5ELi6ELi7EEEENSI_IJLi8ELi9ELi10EEEEEEENSI_IJLi5ELi6ELi7ELi8ELi9ELi10EEEElEENS_31BlockToCTileMap_M00_N00_M01_N01ILi128ELi128ES12_Lb0EEELb1ELb0EEEvPKT0_S25_PT1_T2_T3_T4_T5_.has_dyn_sized_stack, 0
	.set _ZN2ck19kernel_gemm_dl_v1r3INS_28GridwiseGemmDl_km_kn_mn_v1r3ILi256EaiaLNS_25InMemoryDataOperationEnumE0ENS_16TensorDescriptorINS_5TupleIJNS_5EmbedINS4_IJiiEEENS4_IJNS_17integral_constantIiLi1EEEiEEELb0EEENS_7UnMergeINS4_IJiNS7_IiLi4EEEEEELb0EEENS_11PassThroughIiEEEEENS4_IJNS_8SequenceIJLi0EEEENSI_IJLi2EEEENSI_IJLi1EEEEEEENS4_IJNSI_IJLi1ELi2EEEENSI_IJLi3ELi4EEEENSI_IJLi5EEEEEEENSI_IJLi3ELi5ELi4EEEElEENS3_INS4_IJNS5_IS6_NS4_IJiS8_EEELb0EEESE_SG_EEENS4_IJSJ_SL_SK_EEESQ_SR_lEENS3_INS4_IJSU_SG_SG_EEESW_NS4_IJSN_NSI_IJLi3EEEENSI_IJLi4EEEEEEESO_lEELi128ELi128ELi16ELi4ELi4ELi4ELi1ENSI_IJLi8ELi2EEEES13_NSI_IJLi2ELi1ELi4ELi4EEEENSI_IJLi8ELi1ELi32ELi1EEEENSI_IJLi0ELi3ELi1ELi2EEEES16_NSI_IJLi1ELi1ELi4ELi1EEEES16_NSI_IJLi1ELi1ELi4ELi4EEEES14_S15_S16_S16_S17_S16_S18_NSI_IJLi0ELi1ELi2ELi3ELi4ELi5EEEELi5ELi4EEEaaNS3_INS4_IJSA_SE_SG_SG_NSB_INS4_IJiNS7_IiLi128EEEEEELb0EEENSF_ISC_EEEEENS4_IJSJ_SK_SL_SZ_SP_S10_EEENS4_IJSN_SO_SP_NSI_IJLi6EEEENSI_IJLi7ELi8EEEENSI_IJLi9EEEEEEENSI_IJLi6ELi7ELi8ELi9EEEElEENS3_INS4_IJSU_SE_SG_SG_S1D_S1E_EEENS4_IJSJ_SL_SK_SZ_SP_S10_EEES1K_S1L_lEENS3_INS4_IJSU_SG_SG_NSB_INS4_IJiNS7_IiLi2EEENS7_IiLi64EEEEEELb0EEES1T_EEENS4_IJSJ_SL_SK_SZ_S10_EEENS4_IJSN_SZ_S10_NSI_IJLi5ELi6ELi7EEEENSI_IJLi8ELi9ELi10EEEEEEENSI_IJLi5ELi6ELi7ELi8ELi9ELi10EEEElEENS_31BlockToCTileMap_M00_N00_M01_N01ILi128ELi128ES12_Lb0EEELb1ELb0EEEvPKT0_S25_PT1_T2_T3_T4_T5_.has_recursion, 0
	.set _ZN2ck19kernel_gemm_dl_v1r3INS_28GridwiseGemmDl_km_kn_mn_v1r3ILi256EaiaLNS_25InMemoryDataOperationEnumE0ENS_16TensorDescriptorINS_5TupleIJNS_5EmbedINS4_IJiiEEENS4_IJNS_17integral_constantIiLi1EEEiEEELb0EEENS_7UnMergeINS4_IJiNS7_IiLi4EEEEEELb0EEENS_11PassThroughIiEEEEENS4_IJNS_8SequenceIJLi0EEEENSI_IJLi2EEEENSI_IJLi1EEEEEEENS4_IJNSI_IJLi1ELi2EEEENSI_IJLi3ELi4EEEENSI_IJLi5EEEEEEENSI_IJLi3ELi5ELi4EEEElEENS3_INS4_IJNS5_IS6_NS4_IJiS8_EEELb0EEESE_SG_EEENS4_IJSJ_SL_SK_EEESQ_SR_lEENS3_INS4_IJSU_SG_SG_EEESW_NS4_IJSN_NSI_IJLi3EEEENSI_IJLi4EEEEEEESO_lEELi128ELi128ELi16ELi4ELi4ELi4ELi1ENSI_IJLi8ELi2EEEES13_NSI_IJLi2ELi1ELi4ELi4EEEENSI_IJLi8ELi1ELi32ELi1EEEENSI_IJLi0ELi3ELi1ELi2EEEES16_NSI_IJLi1ELi1ELi4ELi1EEEES16_NSI_IJLi1ELi1ELi4ELi4EEEES14_S15_S16_S16_S17_S16_S18_NSI_IJLi0ELi1ELi2ELi3ELi4ELi5EEEELi5ELi4EEEaaNS3_INS4_IJSA_SE_SG_SG_NSB_INS4_IJiNS7_IiLi128EEEEEELb0EEENSF_ISC_EEEEENS4_IJSJ_SK_SL_SZ_SP_S10_EEENS4_IJSN_SO_SP_NSI_IJLi6EEEENSI_IJLi7ELi8EEEENSI_IJLi9EEEEEEENSI_IJLi6ELi7ELi8ELi9EEEElEENS3_INS4_IJSU_SE_SG_SG_S1D_S1E_EEENS4_IJSJ_SL_SK_SZ_SP_S10_EEES1K_S1L_lEENS3_INS4_IJSU_SG_SG_NSB_INS4_IJiNS7_IiLi2EEENS7_IiLi64EEEEEELb0EEES1T_EEENS4_IJSJ_SL_SK_SZ_S10_EEENS4_IJSN_SZ_S10_NSI_IJLi5ELi6ELi7EEEENSI_IJLi8ELi9ELi10EEEEEEENSI_IJLi5ELi6ELi7ELi8ELi9ELi10EEEElEENS_31BlockToCTileMap_M00_N00_M01_N01ILi128ELi128ES12_Lb0EEELb1ELb0EEEvPKT0_S25_PT1_T2_T3_T4_T5_.has_indirect_call, 0
	.section	.AMDGPU.csdata,"",@progbits
; Kernel info:
; codeLenInByte = 18556
; TotalNumSgprs: 46
; NumVgprs: 140
; NumAgprs: 0
; TotalNumVgprs: 140
; ScratchSize: 0
; MemoryBound: 0
; FloatMode: 240
; IeeeMode: 1
; LDSByteSize: 32768 bytes/workgroup (compile time only)
; SGPRBlocks: 12
; VGPRBlocks: 17
; NumSGPRsForWavesPerEU: 102
; NumVGPRsForWavesPerEU: 140
; AccumOffset: 140
; Occupancy: 3
; WaveLimiterHint : 0
; COMPUTE_PGM_RSRC2:SCRATCH_EN: 0
; COMPUTE_PGM_RSRC2:USER_SGPR: 2
; COMPUTE_PGM_RSRC2:TRAP_HANDLER: 0
; COMPUTE_PGM_RSRC2:TGID_X_EN: 1
; COMPUTE_PGM_RSRC2:TGID_Y_EN: 0
; COMPUTE_PGM_RSRC2:TGID_Z_EN: 0
; COMPUTE_PGM_RSRC2:TIDIG_COMP_CNT: 0
; COMPUTE_PGM_RSRC3_GFX90A:ACCUM_OFFSET: 34
; COMPUTE_PGM_RSRC3_GFX90A:TG_SPLIT: 0
	.section	.text._ZN2ck19kernel_gemm_dl_v1r3INS_28GridwiseGemmDl_km_kn_mn_v1r3ILi256EaiaLNS_25InMemoryDataOperationEnumE0ENS_16TensorDescriptorINS_5TupleIJNS_5EmbedINS4_IJiiEEENS4_IJNS_17integral_constantIiLi1EEEiEEELb0EEENS_7UnMergeINS4_IJiNS7_IiLi4EEEEEELb0EEENS_11PassThroughIiEEEEENS4_IJNS_8SequenceIJLi0EEEENSI_IJLi2EEEENSI_IJLi1EEEEEEENS4_IJNSI_IJLi1ELi2EEEENSI_IJLi3ELi4EEEENSI_IJLi5EEEEEEENSI_IJLi3ELi5ELi4EEEElEENS3_INS4_IJNS5_IS6_NS4_IJiS8_EEELb0EEESE_SG_EEENS4_IJSJ_SL_SK_EEESQ_SR_lEENS3_INS4_IJSU_SG_SG_EEESW_NS4_IJSN_NSI_IJLi3EEEENSI_IJLi4EEEEEEESO_lEELi128ELi128ELi16ELi4ELi4ELi4ELi1ENSI_IJLi8ELi2EEEES13_NSI_IJLi2ELi1ELi4ELi4EEEENSI_IJLi8ELi1ELi32ELi1EEEENSI_IJLi0ELi3ELi1ELi2EEEES16_NSI_IJLi1ELi1ELi4ELi1EEEES16_NSI_IJLi1ELi1ELi4ELi4EEEES14_S15_S16_S16_S17_S16_S18_NSI_IJLi0ELi1ELi2ELi3ELi4ELi5EEEELi5ELi4EEEaaNS3_INS4_IJSA_SE_SG_SG_NSB_INS4_IJiNS7_IiLi128EEEEEELb0EEENSF_ISC_EEEEENS4_IJSJ_SK_SL_SZ_SP_S10_EEENS4_IJSN_SO_SP_NSI_IJLi6EEEENSI_IJLi7ELi8EEEENSI_IJLi9EEEEEEENSI_IJLi6ELi7ELi8ELi9EEEElEENS3_INS4_IJSU_SE_SG_SG_S1D_S1E_EEENS4_IJSJ_SL_SK_SZ_SP_S10_EEES1K_S1L_lEENS3_INS4_IJSU_SG_SG_NSB_INS4_IJiNS7_IiLi2EEENS7_IiLi64EEEEEELb0EEES1T_EEENS4_IJSJ_SL_SK_SZ_S10_EEENS4_IJSN_SZ_S10_NSI_IJLi5ELi6ELi7EEEENSI_IJLi8ELi9ELi10EEEEEEENSI_IJLi5ELi6ELi7ELi8ELi9ELi10EEEElEENS_31BlockToCTileMap_M00_N00_M01_N01ILi128ELi128ES12_Lb0EEELb0ELb1EEEvPKT0_S25_PT1_T2_T3_T4_T5_,"axG",@progbits,_ZN2ck19kernel_gemm_dl_v1r3INS_28GridwiseGemmDl_km_kn_mn_v1r3ILi256EaiaLNS_25InMemoryDataOperationEnumE0ENS_16TensorDescriptorINS_5TupleIJNS_5EmbedINS4_IJiiEEENS4_IJNS_17integral_constantIiLi1EEEiEEELb0EEENS_7UnMergeINS4_IJiNS7_IiLi4EEEEEELb0EEENS_11PassThroughIiEEEEENS4_IJNS_8SequenceIJLi0EEEENSI_IJLi2EEEENSI_IJLi1EEEEEEENS4_IJNSI_IJLi1ELi2EEEENSI_IJLi3ELi4EEEENSI_IJLi5EEEEEEENSI_IJLi3ELi5ELi4EEEElEENS3_INS4_IJNS5_IS6_NS4_IJiS8_EEELb0EEESE_SG_EEENS4_IJSJ_SL_SK_EEESQ_SR_lEENS3_INS4_IJSU_SG_SG_EEESW_NS4_IJSN_NSI_IJLi3EEEENSI_IJLi4EEEEEEESO_lEELi128ELi128ELi16ELi4ELi4ELi4ELi1ENSI_IJLi8ELi2EEEES13_NSI_IJLi2ELi1ELi4ELi4EEEENSI_IJLi8ELi1ELi32ELi1EEEENSI_IJLi0ELi3ELi1ELi2EEEES16_NSI_IJLi1ELi1ELi4ELi1EEEES16_NSI_IJLi1ELi1ELi4ELi4EEEES14_S15_S16_S16_S17_S16_S18_NSI_IJLi0ELi1ELi2ELi3ELi4ELi5EEEELi5ELi4EEEaaNS3_INS4_IJSA_SE_SG_SG_NSB_INS4_IJiNS7_IiLi128EEEEEELb0EEENSF_ISC_EEEEENS4_IJSJ_SK_SL_SZ_SP_S10_EEENS4_IJSN_SO_SP_NSI_IJLi6EEEENSI_IJLi7ELi8EEEENSI_IJLi9EEEEEEENSI_IJLi6ELi7ELi8ELi9EEEElEENS3_INS4_IJSU_SE_SG_SG_S1D_S1E_EEENS4_IJSJ_SL_SK_SZ_SP_S10_EEES1K_S1L_lEENS3_INS4_IJSU_SG_SG_NSB_INS4_IJiNS7_IiLi2EEENS7_IiLi64EEEEEELb0EEES1T_EEENS4_IJSJ_SL_SK_SZ_S10_EEENS4_IJSN_SZ_S10_NSI_IJLi5ELi6ELi7EEEENSI_IJLi8ELi9ELi10EEEEEEENSI_IJLi5ELi6ELi7ELi8ELi9ELi10EEEElEENS_31BlockToCTileMap_M00_N00_M01_N01ILi128ELi128ES12_Lb0EEELb0ELb1EEEvPKT0_S25_PT1_T2_T3_T4_T5_,comdat
	.protected	_ZN2ck19kernel_gemm_dl_v1r3INS_28GridwiseGemmDl_km_kn_mn_v1r3ILi256EaiaLNS_25InMemoryDataOperationEnumE0ENS_16TensorDescriptorINS_5TupleIJNS_5EmbedINS4_IJiiEEENS4_IJNS_17integral_constantIiLi1EEEiEEELb0EEENS_7UnMergeINS4_IJiNS7_IiLi4EEEEEELb0EEENS_11PassThroughIiEEEEENS4_IJNS_8SequenceIJLi0EEEENSI_IJLi2EEEENSI_IJLi1EEEEEEENS4_IJNSI_IJLi1ELi2EEEENSI_IJLi3ELi4EEEENSI_IJLi5EEEEEEENSI_IJLi3ELi5ELi4EEEElEENS3_INS4_IJNS5_IS6_NS4_IJiS8_EEELb0EEESE_SG_EEENS4_IJSJ_SL_SK_EEESQ_SR_lEENS3_INS4_IJSU_SG_SG_EEESW_NS4_IJSN_NSI_IJLi3EEEENSI_IJLi4EEEEEEESO_lEELi128ELi128ELi16ELi4ELi4ELi4ELi1ENSI_IJLi8ELi2EEEES13_NSI_IJLi2ELi1ELi4ELi4EEEENSI_IJLi8ELi1ELi32ELi1EEEENSI_IJLi0ELi3ELi1ELi2EEEES16_NSI_IJLi1ELi1ELi4ELi1EEEES16_NSI_IJLi1ELi1ELi4ELi4EEEES14_S15_S16_S16_S17_S16_S18_NSI_IJLi0ELi1ELi2ELi3ELi4ELi5EEEELi5ELi4EEEaaNS3_INS4_IJSA_SE_SG_SG_NSB_INS4_IJiNS7_IiLi128EEEEEELb0EEENSF_ISC_EEEEENS4_IJSJ_SK_SL_SZ_SP_S10_EEENS4_IJSN_SO_SP_NSI_IJLi6EEEENSI_IJLi7ELi8EEEENSI_IJLi9EEEEEEENSI_IJLi6ELi7ELi8ELi9EEEElEENS3_INS4_IJSU_SE_SG_SG_S1D_S1E_EEENS4_IJSJ_SL_SK_SZ_SP_S10_EEES1K_S1L_lEENS3_INS4_IJSU_SG_SG_NSB_INS4_IJiNS7_IiLi2EEENS7_IiLi64EEEEEELb0EEES1T_EEENS4_IJSJ_SL_SK_SZ_S10_EEENS4_IJSN_SZ_S10_NSI_IJLi5ELi6ELi7EEEENSI_IJLi8ELi9ELi10EEEEEEENSI_IJLi5ELi6ELi7ELi8ELi9ELi10EEEElEENS_31BlockToCTileMap_M00_N00_M01_N01ILi128ELi128ES12_Lb0EEELb0ELb1EEEvPKT0_S25_PT1_T2_T3_T4_T5_ ; -- Begin function _ZN2ck19kernel_gemm_dl_v1r3INS_28GridwiseGemmDl_km_kn_mn_v1r3ILi256EaiaLNS_25InMemoryDataOperationEnumE0ENS_16TensorDescriptorINS_5TupleIJNS_5EmbedINS4_IJiiEEENS4_IJNS_17integral_constantIiLi1EEEiEEELb0EEENS_7UnMergeINS4_IJiNS7_IiLi4EEEEEELb0EEENS_11PassThroughIiEEEEENS4_IJNS_8SequenceIJLi0EEEENSI_IJLi2EEEENSI_IJLi1EEEEEEENS4_IJNSI_IJLi1ELi2EEEENSI_IJLi3ELi4EEEENSI_IJLi5EEEEEEENSI_IJLi3ELi5ELi4EEEElEENS3_INS4_IJNS5_IS6_NS4_IJiS8_EEELb0EEESE_SG_EEENS4_IJSJ_SL_SK_EEESQ_SR_lEENS3_INS4_IJSU_SG_SG_EEESW_NS4_IJSN_NSI_IJLi3EEEENSI_IJLi4EEEEEEESO_lEELi128ELi128ELi16ELi4ELi4ELi4ELi1ENSI_IJLi8ELi2EEEES13_NSI_IJLi2ELi1ELi4ELi4EEEENSI_IJLi8ELi1ELi32ELi1EEEENSI_IJLi0ELi3ELi1ELi2EEEES16_NSI_IJLi1ELi1ELi4ELi1EEEES16_NSI_IJLi1ELi1ELi4ELi4EEEES14_S15_S16_S16_S17_S16_S18_NSI_IJLi0ELi1ELi2ELi3ELi4ELi5EEEELi5ELi4EEEaaNS3_INS4_IJSA_SE_SG_SG_NSB_INS4_IJiNS7_IiLi128EEEEEELb0EEENSF_ISC_EEEEENS4_IJSJ_SK_SL_SZ_SP_S10_EEENS4_IJSN_SO_SP_NSI_IJLi6EEEENSI_IJLi7ELi8EEEENSI_IJLi9EEEEEEENSI_IJLi6ELi7ELi8ELi9EEEElEENS3_INS4_IJSU_SE_SG_SG_S1D_S1E_EEENS4_IJSJ_SL_SK_SZ_SP_S10_EEES1K_S1L_lEENS3_INS4_IJSU_SG_SG_NSB_INS4_IJiNS7_IiLi2EEENS7_IiLi64EEEEEELb0EEES1T_EEENS4_IJSJ_SL_SK_SZ_S10_EEENS4_IJSN_SZ_S10_NSI_IJLi5ELi6ELi7EEEENSI_IJLi8ELi9ELi10EEEEEEENSI_IJLi5ELi6ELi7ELi8ELi9ELi10EEEElEENS_31BlockToCTileMap_M00_N00_M01_N01ILi128ELi128ES12_Lb0EEELb0ELb1EEEvPKT0_S25_PT1_T2_T3_T4_T5_
	.globl	_ZN2ck19kernel_gemm_dl_v1r3INS_28GridwiseGemmDl_km_kn_mn_v1r3ILi256EaiaLNS_25InMemoryDataOperationEnumE0ENS_16TensorDescriptorINS_5TupleIJNS_5EmbedINS4_IJiiEEENS4_IJNS_17integral_constantIiLi1EEEiEEELb0EEENS_7UnMergeINS4_IJiNS7_IiLi4EEEEEELb0EEENS_11PassThroughIiEEEEENS4_IJNS_8SequenceIJLi0EEEENSI_IJLi2EEEENSI_IJLi1EEEEEEENS4_IJNSI_IJLi1ELi2EEEENSI_IJLi3ELi4EEEENSI_IJLi5EEEEEEENSI_IJLi3ELi5ELi4EEEElEENS3_INS4_IJNS5_IS6_NS4_IJiS8_EEELb0EEESE_SG_EEENS4_IJSJ_SL_SK_EEESQ_SR_lEENS3_INS4_IJSU_SG_SG_EEESW_NS4_IJSN_NSI_IJLi3EEEENSI_IJLi4EEEEEEESO_lEELi128ELi128ELi16ELi4ELi4ELi4ELi1ENSI_IJLi8ELi2EEEES13_NSI_IJLi2ELi1ELi4ELi4EEEENSI_IJLi8ELi1ELi32ELi1EEEENSI_IJLi0ELi3ELi1ELi2EEEES16_NSI_IJLi1ELi1ELi4ELi1EEEES16_NSI_IJLi1ELi1ELi4ELi4EEEES14_S15_S16_S16_S17_S16_S18_NSI_IJLi0ELi1ELi2ELi3ELi4ELi5EEEELi5ELi4EEEaaNS3_INS4_IJSA_SE_SG_SG_NSB_INS4_IJiNS7_IiLi128EEEEEELb0EEENSF_ISC_EEEEENS4_IJSJ_SK_SL_SZ_SP_S10_EEENS4_IJSN_SO_SP_NSI_IJLi6EEEENSI_IJLi7ELi8EEEENSI_IJLi9EEEEEEENSI_IJLi6ELi7ELi8ELi9EEEElEENS3_INS4_IJSU_SE_SG_SG_S1D_S1E_EEENS4_IJSJ_SL_SK_SZ_SP_S10_EEES1K_S1L_lEENS3_INS4_IJSU_SG_SG_NSB_INS4_IJiNS7_IiLi2EEENS7_IiLi64EEEEEELb0EEES1T_EEENS4_IJSJ_SL_SK_SZ_S10_EEENS4_IJSN_SZ_S10_NSI_IJLi5ELi6ELi7EEEENSI_IJLi8ELi9ELi10EEEEEEENSI_IJLi5ELi6ELi7ELi8ELi9ELi10EEEElEENS_31BlockToCTileMap_M00_N00_M01_N01ILi128ELi128ES12_Lb0EEELb0ELb1EEEvPKT0_S25_PT1_T2_T3_T4_T5_
	.p2align	8
	.type	_ZN2ck19kernel_gemm_dl_v1r3INS_28GridwiseGemmDl_km_kn_mn_v1r3ILi256EaiaLNS_25InMemoryDataOperationEnumE0ENS_16TensorDescriptorINS_5TupleIJNS_5EmbedINS4_IJiiEEENS4_IJNS_17integral_constantIiLi1EEEiEEELb0EEENS_7UnMergeINS4_IJiNS7_IiLi4EEEEEELb0EEENS_11PassThroughIiEEEEENS4_IJNS_8SequenceIJLi0EEEENSI_IJLi2EEEENSI_IJLi1EEEEEEENS4_IJNSI_IJLi1ELi2EEEENSI_IJLi3ELi4EEEENSI_IJLi5EEEEEEENSI_IJLi3ELi5ELi4EEEElEENS3_INS4_IJNS5_IS6_NS4_IJiS8_EEELb0EEESE_SG_EEENS4_IJSJ_SL_SK_EEESQ_SR_lEENS3_INS4_IJSU_SG_SG_EEESW_NS4_IJSN_NSI_IJLi3EEEENSI_IJLi4EEEEEEESO_lEELi128ELi128ELi16ELi4ELi4ELi4ELi1ENSI_IJLi8ELi2EEEES13_NSI_IJLi2ELi1ELi4ELi4EEEENSI_IJLi8ELi1ELi32ELi1EEEENSI_IJLi0ELi3ELi1ELi2EEEES16_NSI_IJLi1ELi1ELi4ELi1EEEES16_NSI_IJLi1ELi1ELi4ELi4EEEES14_S15_S16_S16_S17_S16_S18_NSI_IJLi0ELi1ELi2ELi3ELi4ELi5EEEELi5ELi4EEEaaNS3_INS4_IJSA_SE_SG_SG_NSB_INS4_IJiNS7_IiLi128EEEEEELb0EEENSF_ISC_EEEEENS4_IJSJ_SK_SL_SZ_SP_S10_EEENS4_IJSN_SO_SP_NSI_IJLi6EEEENSI_IJLi7ELi8EEEENSI_IJLi9EEEEEEENSI_IJLi6ELi7ELi8ELi9EEEElEENS3_INS4_IJSU_SE_SG_SG_S1D_S1E_EEENS4_IJSJ_SL_SK_SZ_SP_S10_EEES1K_S1L_lEENS3_INS4_IJSU_SG_SG_NSB_INS4_IJiNS7_IiLi2EEENS7_IiLi64EEEEEELb0EEES1T_EEENS4_IJSJ_SL_SK_SZ_S10_EEENS4_IJSN_SZ_S10_NSI_IJLi5ELi6ELi7EEEENSI_IJLi8ELi9ELi10EEEEEEENSI_IJLi5ELi6ELi7ELi8ELi9ELi10EEEElEENS_31BlockToCTileMap_M00_N00_M01_N01ILi128ELi128ES12_Lb0EEELb0ELb1EEEvPKT0_S25_PT1_T2_T3_T4_T5_,@function
_ZN2ck19kernel_gemm_dl_v1r3INS_28GridwiseGemmDl_km_kn_mn_v1r3ILi256EaiaLNS_25InMemoryDataOperationEnumE0ENS_16TensorDescriptorINS_5TupleIJNS_5EmbedINS4_IJiiEEENS4_IJNS_17integral_constantIiLi1EEEiEEELb0EEENS_7UnMergeINS4_IJiNS7_IiLi4EEEEEELb0EEENS_11PassThroughIiEEEEENS4_IJNS_8SequenceIJLi0EEEENSI_IJLi2EEEENSI_IJLi1EEEEEEENS4_IJNSI_IJLi1ELi2EEEENSI_IJLi3ELi4EEEENSI_IJLi5EEEEEEENSI_IJLi3ELi5ELi4EEEElEENS3_INS4_IJNS5_IS6_NS4_IJiS8_EEELb0EEESE_SG_EEENS4_IJSJ_SL_SK_EEESQ_SR_lEENS3_INS4_IJSU_SG_SG_EEESW_NS4_IJSN_NSI_IJLi3EEEENSI_IJLi4EEEEEEESO_lEELi128ELi128ELi16ELi4ELi4ELi4ELi1ENSI_IJLi8ELi2EEEES13_NSI_IJLi2ELi1ELi4ELi4EEEENSI_IJLi8ELi1ELi32ELi1EEEENSI_IJLi0ELi3ELi1ELi2EEEES16_NSI_IJLi1ELi1ELi4ELi1EEEES16_NSI_IJLi1ELi1ELi4ELi4EEEES14_S15_S16_S16_S17_S16_S18_NSI_IJLi0ELi1ELi2ELi3ELi4ELi5EEEELi5ELi4EEEaaNS3_INS4_IJSA_SE_SG_SG_NSB_INS4_IJiNS7_IiLi128EEEEEELb0EEENSF_ISC_EEEEENS4_IJSJ_SK_SL_SZ_SP_S10_EEENS4_IJSN_SO_SP_NSI_IJLi6EEEENSI_IJLi7ELi8EEEENSI_IJLi9EEEEEEENSI_IJLi6ELi7ELi8ELi9EEEElEENS3_INS4_IJSU_SE_SG_SG_S1D_S1E_EEENS4_IJSJ_SL_SK_SZ_SP_S10_EEES1K_S1L_lEENS3_INS4_IJSU_SG_SG_NSB_INS4_IJiNS7_IiLi2EEENS7_IiLi64EEEEEELb0EEES1T_EEENS4_IJSJ_SL_SK_SZ_S10_EEENS4_IJSN_SZ_S10_NSI_IJLi5ELi6ELi7EEEENSI_IJLi8ELi9ELi10EEEEEEENSI_IJLi5ELi6ELi7ELi8ELi9ELi10EEEElEENS_31BlockToCTileMap_M00_N00_M01_N01ILi128ELi128ES12_Lb0EEELb0ELb1EEEvPKT0_S25_PT1_T2_T3_T4_T5_: ; @_ZN2ck19kernel_gemm_dl_v1r3INS_28GridwiseGemmDl_km_kn_mn_v1r3ILi256EaiaLNS_25InMemoryDataOperationEnumE0ENS_16TensorDescriptorINS_5TupleIJNS_5EmbedINS4_IJiiEEENS4_IJNS_17integral_constantIiLi1EEEiEEELb0EEENS_7UnMergeINS4_IJiNS7_IiLi4EEEEEELb0EEENS_11PassThroughIiEEEEENS4_IJNS_8SequenceIJLi0EEEENSI_IJLi2EEEENSI_IJLi1EEEEEEENS4_IJNSI_IJLi1ELi2EEEENSI_IJLi3ELi4EEEENSI_IJLi5EEEEEEENSI_IJLi3ELi5ELi4EEEElEENS3_INS4_IJNS5_IS6_NS4_IJiS8_EEELb0EEESE_SG_EEENS4_IJSJ_SL_SK_EEESQ_SR_lEENS3_INS4_IJSU_SG_SG_EEESW_NS4_IJSN_NSI_IJLi3EEEENSI_IJLi4EEEEEEESO_lEELi128ELi128ELi16ELi4ELi4ELi4ELi1ENSI_IJLi8ELi2EEEES13_NSI_IJLi2ELi1ELi4ELi4EEEENSI_IJLi8ELi1ELi32ELi1EEEENSI_IJLi0ELi3ELi1ELi2EEEES16_NSI_IJLi1ELi1ELi4ELi1EEEES16_NSI_IJLi1ELi1ELi4ELi4EEEES14_S15_S16_S16_S17_S16_S18_NSI_IJLi0ELi1ELi2ELi3ELi4ELi5EEEELi5ELi4EEEaaNS3_INS4_IJSA_SE_SG_SG_NSB_INS4_IJiNS7_IiLi128EEEEEELb0EEENSF_ISC_EEEEENS4_IJSJ_SK_SL_SZ_SP_S10_EEENS4_IJSN_SO_SP_NSI_IJLi6EEEENSI_IJLi7ELi8EEEENSI_IJLi9EEEEEEENSI_IJLi6ELi7ELi8ELi9EEEElEENS3_INS4_IJSU_SE_SG_SG_S1D_S1E_EEENS4_IJSJ_SL_SK_SZ_SP_S10_EEES1K_S1L_lEENS3_INS4_IJSU_SG_SG_NSB_INS4_IJiNS7_IiLi2EEENS7_IiLi64EEEEEELb0EEES1T_EEENS4_IJSJ_SL_SK_SZ_S10_EEENS4_IJSN_SZ_S10_NSI_IJLi5ELi6ELi7EEEENSI_IJLi8ELi9ELi10EEEEEEENSI_IJLi5ELi6ELi7ELi8ELi9ELi10EEEElEENS_31BlockToCTileMap_M00_N00_M01_N01ILi128ELi128ES12_Lb0EEELb0ELb1EEEvPKT0_S25_PT1_T2_T3_T4_T5_
; %bb.0:
	s_load_dwordx4 s[24:27], s[0:1], 0x0
	s_load_dwordx2 s[12:13], s[0:1], 0x10
	s_load_dwordx8 s[4:11], s[0:1], 0x10c
	s_load_dwordx4 s[28:31], s[0:1], 0x130
	s_waitcnt lgkmcnt(0)
	s_load_dword s7, s[0:1], 0x24
	s_load_dword s18, s[0:1], 0x50
	;; [unrolled: 1-line block ×8, first 2 shown]
	s_load_dwordx4 s[36:39], s[0:1], 0x108
	v_lshrrev_b32_e32 v1, 4, v0
	s_mul_hi_u32 s11, s11, s2
	s_add_i32 s11, s2, s11
	s_lshr_b32 s1, s11, s31
	s_mul_hi_u32 s0, s1, s10
	s_add_i32 s0, s1, s0
	s_lshr_b32 s10, s0, s30
	;; [unrolled: 3-line block ×4, first 2 shown]
	s_waitcnt lgkmcnt(0)
	s_mul_i32 s8, s8, s36
	s_mul_i32 s4, s0, s4
	;; [unrolled: 1-line block ×3, first 2 shown]
	s_sub_i32 s0, s0, s8
	s_sub_i32 s8, s1, s9
	s_mul_i32 s0, s0, s15
	v_and_b32_e32 v1, 14, v1
	s_add_i32 s8, s8, s0
	v_lshlrev_b32_e32 v2, 2, v0
	v_lshlrev_b32_e32 v4, 2, v1
	v_and_b32_e32 v3, 0x7c, v2
	s_lshl_b32 s0, s8, 7
	v_mul_lo_u32 v5, s7, v4
	v_add3_u32 v5, v5, v3, s0
	v_add_u32_e32 v6, s7, v5
	s_and_b32 s17, s25, 0xffff
	s_mov_b32 s19, 0x20000
	s_mov_b32 s16, s24
	v_add_u32_e32 v7, s7, v6
	v_add_u32_e32 v8, s7, v7
	buffer_load_dword v10, v5, s[16:19], 0 offen
	buffer_load_dword v11, v6, s[16:19], 0 offen
	;; [unrolled: 1-line block ×4, first 2 shown]
	s_mul_i32 s1, s1, s6
	s_sub_i32 s4, s10, s4
	s_lshl_b32 s10, s7, 2
	s_sub_i32 s1, s2, s1
	s_mul_i32 s4, s4, s20
	v_add_u32_e32 v81, s10, v8
	v_add_u32_e32 v82, s10, v7
	;; [unrolled: 1-line block ×4, first 2 shown]
	buffer_load_dword v5, v81, s[16:19], 0 offen
	buffer_load_dword v6, v82, s[16:19], 0 offen
	;; [unrolled: 1-line block ×4, first 2 shown]
	s_add_i32 s1, s1, s4
	s_lshl_b32 s1, s1, 7
	v_mul_lo_u32 v4, s5, v4
	v_add3_u32 v4, v4, v3, s1
	v_add_u32_e32 v8, s5, v4
	s_and_b32 s21, s27, 0xffff
	s_mov_b32 s20, s26
	s_mov_b32 s23, s19
	v_add_u32_e32 v9, s5, v8
	v_add_u32_e32 v15, s5, v9
	buffer_load_dword v16, v4, s[20:23], 0 offen
	buffer_load_dword v17, v8, s[20:23], 0 offen
	;; [unrolled: 1-line block ×4, first 2 shown]
	s_lshl_b32 s9, s5, 2
	v_add_u32_e32 v77, s9, v15
	v_add_u32_e32 v78, s9, v9
	;; [unrolled: 1-line block ×4, first 2 shown]
	buffer_load_dword v4, v77, s[20:23], 0 offen
	buffer_load_dword v15, v79, s[20:23], 0 offen
	;; [unrolled: 1-line block ×4, first 2 shown]
	v_lshrrev_b32_e32 v8, 5, v0
	v_lshlrev_b32_e32 v0, 1, v0
	v_lshlrev_b32_e32 v9, 6, v8
	v_and_b32_e32 v22, 0x1f8, v0
	s_mov_b32 s2, 0xc0c0004
	s_mov_b32 s4, 0xc0c0105
	v_lshlrev_b32_e32 v8, 3, v8
	v_lshlrev_b32_e32 v3, 2, v3
	v_sub_u32_e32 v22, v22, v9
	v_and_or_b32 v9, v0, 4, v8
	v_lshl_or_b32 v76, v1, 9, v3
	v_and_or_b32 v8, v2, 4, v22
	s_mov_b32 s6, 0xc0c0206
	s_mov_b32 s8, 0xc0c0307
	v_lshlrev_b32_e32 v58, 2, v9
	v_lshlrev_b32_e32 v62, 2, v8
	v_mov_b32_e32 v40, 0
	v_mov_b32_e32 v47, 0
	;; [unrolled: 1-line block ×34, first 2 shown]
	s_waitcnt vmcnt(14)
	v_perm_b32 v0, v10, v11, s2
	v_perm_b32 v1, v10, v11, s4
	s_waitcnt vmcnt(12)
	v_perm_b32 v2, v12, v13, s2
	v_perm_b32 v3, v12, v13, s4
	v_lshl_or_b32 v0, v2, 16, v0
	v_lshl_or_b32 v1, v3, 16, v1
	v_perm_b32 v2, v10, v11, s6
	v_perm_b32 v3, v12, v13, s6
	v_lshl_or_b32 v2, v3, 16, v2
	v_perm_b32 v3, v10, v11, s8
	v_perm_b32 v10, v12, v13, s8
	v_lshl_or_b32 v3, v10, 16, v3
	ds_write_b128 v76, v[0:3]
	s_waitcnt vmcnt(8)
	v_perm_b32 v0, v14, v7, s2
	v_perm_b32 v1, v6, v5, s2
	v_lshl_or_b32 v0, v1, 16, v0
	v_perm_b32 v1, v14, v7, s4
	v_perm_b32 v2, v6, v5, s4
	v_lshl_or_b32 v1, v2, 16, v1
	v_perm_b32 v2, v14, v7, s6
	v_perm_b32 v3, v6, v5, s6
	v_lshl_or_b32 v2, v3, 16, v2
	v_perm_b32 v3, v14, v7, s8
	v_perm_b32 v5, v6, v5, s8
	v_lshl_or_b32 v3, v5, 16, v3
	ds_write_b128 v76, v[0:3] offset:512
	s_waitcnt vmcnt(6)
	v_perm_b32 v0, v16, v17, s2
	s_waitcnt vmcnt(4)
	v_perm_b32 v1, v18, v19, s2
	v_lshl_or_b32 v0, v1, 16, v0
	v_perm_b32 v1, v16, v17, s4
	v_perm_b32 v2, v18, v19, s4
	v_lshl_or_b32 v1, v2, 16, v1
	v_perm_b32 v2, v16, v17, s6
	;; [unrolled: 3-line block ×3, first 2 shown]
	v_perm_b32 v5, v18, v19, s8
	v_lshl_or_b32 v3, v5, 16, v3
	ds_write_b128 v76, v[0:3] offset:16384
	s_waitcnt vmcnt(1)
	v_perm_b32 v0, v20, v15, s2
	s_waitcnt vmcnt(0)
	v_perm_b32 v1, v21, v4, s2
	v_lshl_or_b32 v0, v1, 16, v0
	v_perm_b32 v1, v20, v15, s4
	v_perm_b32 v2, v21, v4, s4
	v_lshl_or_b32 v1, v2, 16, v1
	v_perm_b32 v2, v20, v15, s6
	;; [unrolled: 3-line block ×3, first 2 shown]
	v_perm_b32 v4, v21, v4, s8
	v_lshl_or_b32 v3, v4, 16, v3
	ds_write_b128 v76, v[0:3] offset:16896
	s_waitcnt lgkmcnt(0)
	s_barrier
	ds_read_b128 v[0:3], v58
	ds_read_b128 v[4:7], v62 offset:16384
	ds_read_b128 v[86:89], v62 offset:16640
	;; [unrolled: 1-line block ×3, first 2 shown]
	v_mov_b32_e32 v10, 0
	v_mov_b32_e32 v15, 0
	;; [unrolled: 1-line block ×30, first 2 shown]
	s_waitcnt lgkmcnt(2)
	v_dot4c_i32_i8_e32 v40, v0, v4
	v_dot4c_i32_i8_e32 v47, v0, v5
	;; [unrolled: 1-line block ×16, first 2 shown]
	s_waitcnt lgkmcnt(1)
	v_dot4c_i32_i8_e32 v56, v0, v86
	v_dot4c_i32_i8_e32 v63, v0, v87
	;; [unrolled: 1-line block ×16, first 2 shown]
	ds_read_b128 v[0:3], v58 offset:512
	s_waitcnt lgkmcnt(1)
	v_dot4c_i32_i8_e32 v11, v90, v4
	v_dot4c_i32_i8_e32 v12, v90, v5
	;; [unrolled: 1-line block ×32, first 2 shown]
	ds_read_b128 v[4:7], v62 offset:16896
	ds_read_b128 v[86:89], v62 offset:17152
	;; [unrolled: 1-line block ×3, first 2 shown]
	s_mul_i32 s11, s7, 60
	v_add_u32_e32 v84, s11, v84
	s_waitcnt lgkmcnt(2)
	v_dot4c_i32_i8_e32 v40, v0, v4
	v_dot4c_i32_i8_e32 v47, v0, v5
	v_dot4c_i32_i8_e32 v48, v0, v6
	v_dot4c_i32_i8_e32 v46, v0, v7
	v_dot4c_i32_i8_e32 v23, v1, v4
	v_dot4c_i32_i8_e32 v26, v1, v5
	v_dot4c_i32_i8_e32 v27, v1, v6
	v_dot4c_i32_i8_e32 v28, v1, v7
	v_dot4c_i32_i8_e32 v24, v2, v4
	v_dot4c_i32_i8_e32 v29, v2, v5
	v_dot4c_i32_i8_e32 v30, v2, v6
	v_dot4c_i32_i8_e32 v31, v2, v7
	v_dot4c_i32_i8_e32 v15, v3, v4
	v_dot4c_i32_i8_e32 v16, v3, v5
	v_dot4c_i32_i8_e32 v17, v3, v6
	v_dot4c_i32_i8_e32 v18, v3, v7
	s_waitcnt lgkmcnt(1)
	v_dot4c_i32_i8_e32 v56, v0, v86
	v_dot4c_i32_i8_e32 v63, v0, v87
	v_dot4c_i32_i8_e32 v64, v0, v88
	v_dot4c_i32_i8_e32 v65, v0, v89
	v_dot4c_i32_i8_e32 v55, v1, v86
	v_dot4c_i32_i8_e32 v59, v1, v87
	v_dot4c_i32_i8_e32 v60, v1, v88
	v_dot4c_i32_i8_e32 v61, v1, v89
	v_dot4c_i32_i8_e32 v41, v2, v86
	v_dot4c_i32_i8_e32 v49, v2, v87
	v_dot4c_i32_i8_e32 v50, v2, v88
	v_dot4c_i32_i8_e32 v51, v2, v89
	v_dot4c_i32_i8_e32 v42, v3, v86
	v_dot4c_i32_i8_e32 v52, v3, v87
	v_dot4c_i32_i8_e32 v53, v3, v88
	v_dot4c_i32_i8_e32 v54, v3, v89
	;; [unrolled: 17-line block ×3, first 2 shown]
	ds_read_b128 v[0:3], v58 offset:1024
	v_dot4c_i32_i8_e32 v25, v90, v86
	v_dot4c_i32_i8_e32 v32, v90, v87
	;; [unrolled: 1-line block ×16, first 2 shown]
	ds_read_b128 v[4:7], v62 offset:17408
	ds_read_b128 v[86:89], v62 offset:17664
	;; [unrolled: 1-line block ×3, first 2 shown]
	v_add_u32_e32 v81, s11, v81
	v_add_u32_e32 v83, s11, v83
	s_waitcnt lgkmcnt(2)
	v_dot4c_i32_i8_e32 v40, v0, v4
	v_dot4c_i32_i8_e32 v47, v0, v5
	v_dot4c_i32_i8_e32 v48, v0, v6
	v_dot4c_i32_i8_e32 v46, v0, v7
	v_dot4c_i32_i8_e32 v23, v1, v4
	v_dot4c_i32_i8_e32 v26, v1, v5
	v_dot4c_i32_i8_e32 v27, v1, v6
	v_dot4c_i32_i8_e32 v28, v1, v7
	v_dot4c_i32_i8_e32 v24, v2, v4
	v_dot4c_i32_i8_e32 v29, v2, v5
	v_dot4c_i32_i8_e32 v30, v2, v6
	v_dot4c_i32_i8_e32 v31, v2, v7
	v_dot4c_i32_i8_e32 v15, v3, v4
	v_dot4c_i32_i8_e32 v16, v3, v5
	v_dot4c_i32_i8_e32 v17, v3, v6
	v_dot4c_i32_i8_e32 v18, v3, v7
	s_waitcnt lgkmcnt(1)
	v_dot4c_i32_i8_e32 v56, v0, v86
	v_dot4c_i32_i8_e32 v63, v0, v87
	v_dot4c_i32_i8_e32 v64, v0, v88
	v_dot4c_i32_i8_e32 v65, v0, v89
	v_dot4c_i32_i8_e32 v55, v1, v86
	v_dot4c_i32_i8_e32 v59, v1, v87
	v_dot4c_i32_i8_e32 v60, v1, v88
	v_dot4c_i32_i8_e32 v61, v1, v89
	v_dot4c_i32_i8_e32 v41, v2, v86
	v_dot4c_i32_i8_e32 v49, v2, v87
	v_dot4c_i32_i8_e32 v50, v2, v88
	v_dot4c_i32_i8_e32 v51, v2, v89
	v_dot4c_i32_i8_e32 v42, v3, v86
	v_dot4c_i32_i8_e32 v52, v3, v87
	v_dot4c_i32_i8_e32 v53, v3, v88
	v_dot4c_i32_i8_e32 v54, v3, v89
	;; [unrolled: 17-line block ×3, first 2 shown]
	ds_read_b128 v[0:3], v58 offset:1536
	v_dot4c_i32_i8_e32 v25, v90, v86
	v_dot4c_i32_i8_e32 v32, v90, v87
	;; [unrolled: 1-line block ×16, first 2 shown]
	ds_read_b128 v[4:7], v62 offset:17920
	ds_read_b128 v[86:89], v62 offset:18176
	;; [unrolled: 1-line block ×3, first 2 shown]
	v_add_u32_e32 v82, s11, v82
	s_and_b32 s13, s13, 0xffff
	s_waitcnt lgkmcnt(2)
	v_dot4c_i32_i8_e32 v40, v0, v4
	v_dot4c_i32_i8_e32 v47, v0, v5
	v_dot4c_i32_i8_e32 v48, v0, v6
	v_dot4c_i32_i8_e32 v46, v0, v7
	v_dot4c_i32_i8_e32 v23, v1, v4
	v_dot4c_i32_i8_e32 v26, v1, v5
	v_dot4c_i32_i8_e32 v27, v1, v6
	v_dot4c_i32_i8_e32 v28, v1, v7
	v_dot4c_i32_i8_e32 v24, v2, v4
	v_dot4c_i32_i8_e32 v29, v2, v5
	v_dot4c_i32_i8_e32 v30, v2, v6
	v_dot4c_i32_i8_e32 v31, v2, v7
	v_dot4c_i32_i8_e32 v15, v3, v4
	v_dot4c_i32_i8_e32 v16, v3, v5
	v_dot4c_i32_i8_e32 v17, v3, v6
	v_dot4c_i32_i8_e32 v18, v3, v7
	s_waitcnt lgkmcnt(1)
	v_dot4c_i32_i8_e32 v56, v0, v86
	v_dot4c_i32_i8_e32 v63, v0, v87
	v_dot4c_i32_i8_e32 v64, v0, v88
	v_dot4c_i32_i8_e32 v65, v0, v89
	v_dot4c_i32_i8_e32 v55, v1, v86
	v_dot4c_i32_i8_e32 v59, v1, v87
	v_dot4c_i32_i8_e32 v60, v1, v88
	v_dot4c_i32_i8_e32 v61, v1, v89
	v_dot4c_i32_i8_e32 v41, v2, v86
	v_dot4c_i32_i8_e32 v49, v2, v87
	v_dot4c_i32_i8_e32 v50, v2, v88
	v_dot4c_i32_i8_e32 v51, v2, v89
	v_dot4c_i32_i8_e32 v42, v3, v86
	v_dot4c_i32_i8_e32 v52, v3, v87
	v_dot4c_i32_i8_e32 v53, v3, v88
	v_dot4c_i32_i8_e32 v54, v3, v89
	;; [unrolled: 17-line block ×3, first 2 shown]
	ds_read_b128 v[0:3], v58 offset:2048
	v_dot4c_i32_i8_e32 v25, v90, v86
	v_dot4c_i32_i8_e32 v32, v90, v87
	;; [unrolled: 1-line block ×16, first 2 shown]
	ds_read_b128 v[4:7], v62 offset:18432
	ds_read_b128 v[86:89], v62 offset:18688
	;; [unrolled: 1-line block ×3, first 2 shown]
	s_mov_b32 s15, s19
	s_waitcnt lgkmcnt(2)
	v_dot4c_i32_i8_e32 v40, v0, v4
	v_dot4c_i32_i8_e32 v47, v0, v5
	v_dot4c_i32_i8_e32 v48, v0, v6
	v_dot4c_i32_i8_e32 v46, v0, v7
	v_dot4c_i32_i8_e32 v23, v1, v4
	v_dot4c_i32_i8_e32 v26, v1, v5
	v_dot4c_i32_i8_e32 v27, v1, v6
	v_dot4c_i32_i8_e32 v28, v1, v7
	v_dot4c_i32_i8_e32 v24, v2, v4
	v_dot4c_i32_i8_e32 v29, v2, v5
	v_dot4c_i32_i8_e32 v30, v2, v6
	v_dot4c_i32_i8_e32 v31, v2, v7
	v_dot4c_i32_i8_e32 v15, v3, v4
	v_dot4c_i32_i8_e32 v16, v3, v5
	v_dot4c_i32_i8_e32 v17, v3, v6
	v_dot4c_i32_i8_e32 v18, v3, v7
	s_waitcnt lgkmcnt(1)
	v_dot4c_i32_i8_e32 v56, v0, v86
	v_dot4c_i32_i8_e32 v63, v0, v87
	v_dot4c_i32_i8_e32 v64, v0, v88
	v_dot4c_i32_i8_e32 v65, v0, v89
	v_dot4c_i32_i8_e32 v55, v1, v86
	v_dot4c_i32_i8_e32 v59, v1, v87
	v_dot4c_i32_i8_e32 v60, v1, v88
	v_dot4c_i32_i8_e32 v61, v1, v89
	v_dot4c_i32_i8_e32 v41, v2, v86
	v_dot4c_i32_i8_e32 v49, v2, v87
	v_dot4c_i32_i8_e32 v50, v2, v88
	v_dot4c_i32_i8_e32 v51, v2, v89
	v_dot4c_i32_i8_e32 v42, v3, v86
	v_dot4c_i32_i8_e32 v52, v3, v87
	v_dot4c_i32_i8_e32 v53, v3, v88
	v_dot4c_i32_i8_e32 v54, v3, v89
	;; [unrolled: 17-line block ×3, first 2 shown]
	ds_read_b128 v[0:3], v58 offset:2560
	v_dot4c_i32_i8_e32 v25, v90, v86
	v_dot4c_i32_i8_e32 v32, v90, v87
	v_dot4c_i32_i8_e32 v33, v90, v88
	v_dot4c_i32_i8_e32 v34, v90, v89
	v_dot4c_i32_i8_e32 v39, v91, v86
	v_dot4c_i32_i8_e32 v43, v91, v87
	v_dot4c_i32_i8_e32 v44, v91, v88
	v_dot4c_i32_i8_e32 v45, v91, v89
	v_dot4c_i32_i8_e32 v69, v92, v86
	v_dot4c_i32_i8_e32 v70, v92, v87
	v_dot4c_i32_i8_e32 v71, v92, v88
	v_dot4c_i32_i8_e32 v72, v92, v89
	v_dot4c_i32_i8_e32 v73, v93, v86
	v_dot4c_i32_i8_e32 v74, v93, v87
	v_dot4c_i32_i8_e32 v75, v93, v88
	v_dot4c_i32_i8_e32 v10, v93, v89
	ds_read_b128 v[4:7], v62 offset:18944
	ds_read_b128 v[86:89], v62 offset:19200
	;; [unrolled: 1-line block ×3, first 2 shown]
	s_waitcnt lgkmcnt(2)
	v_dot4c_i32_i8_e32 v40, v0, v4
	v_dot4c_i32_i8_e32 v47, v0, v5
	v_dot4c_i32_i8_e32 v48, v0, v6
	v_dot4c_i32_i8_e32 v46, v0, v7
	v_dot4c_i32_i8_e32 v23, v1, v4
	v_dot4c_i32_i8_e32 v26, v1, v5
	v_dot4c_i32_i8_e32 v27, v1, v6
	v_dot4c_i32_i8_e32 v28, v1, v7
	v_dot4c_i32_i8_e32 v24, v2, v4
	v_dot4c_i32_i8_e32 v29, v2, v5
	v_dot4c_i32_i8_e32 v30, v2, v6
	v_dot4c_i32_i8_e32 v31, v2, v7
	v_dot4c_i32_i8_e32 v15, v3, v4
	v_dot4c_i32_i8_e32 v16, v3, v5
	v_dot4c_i32_i8_e32 v17, v3, v6
	v_dot4c_i32_i8_e32 v18, v3, v7
	s_waitcnt lgkmcnt(1)
	v_dot4c_i32_i8_e32 v56, v0, v86
	v_dot4c_i32_i8_e32 v63, v0, v87
	v_dot4c_i32_i8_e32 v64, v0, v88
	v_dot4c_i32_i8_e32 v65, v0, v89
	v_dot4c_i32_i8_e32 v55, v1, v86
	v_dot4c_i32_i8_e32 v59, v1, v87
	v_dot4c_i32_i8_e32 v60, v1, v88
	v_dot4c_i32_i8_e32 v61, v1, v89
	v_dot4c_i32_i8_e32 v41, v2, v86
	v_dot4c_i32_i8_e32 v49, v2, v87
	v_dot4c_i32_i8_e32 v50, v2, v88
	v_dot4c_i32_i8_e32 v51, v2, v89
	v_dot4c_i32_i8_e32 v42, v3, v86
	v_dot4c_i32_i8_e32 v52, v3, v87
	v_dot4c_i32_i8_e32 v53, v3, v88
	v_dot4c_i32_i8_e32 v54, v3, v89
	;; [unrolled: 17-line block ×3, first 2 shown]
	ds_read_b128 v[0:3], v58 offset:3072
	v_dot4c_i32_i8_e32 v25, v90, v86
	v_dot4c_i32_i8_e32 v32, v90, v87
	;; [unrolled: 1-line block ×16, first 2 shown]
	ds_read_b128 v[4:7], v62 offset:19456
	ds_read_b128 v[86:89], v62 offset:19712
	;; [unrolled: 1-line block ×3, first 2 shown]
	s_waitcnt lgkmcnt(2)
	v_dot4c_i32_i8_e32 v40, v0, v4
	v_dot4c_i32_i8_e32 v47, v0, v5
	v_dot4c_i32_i8_e32 v48, v0, v6
	v_dot4c_i32_i8_e32 v46, v0, v7
	v_dot4c_i32_i8_e32 v23, v1, v4
	v_dot4c_i32_i8_e32 v26, v1, v5
	v_dot4c_i32_i8_e32 v27, v1, v6
	v_dot4c_i32_i8_e32 v28, v1, v7
	v_dot4c_i32_i8_e32 v24, v2, v4
	v_dot4c_i32_i8_e32 v29, v2, v5
	v_dot4c_i32_i8_e32 v30, v2, v6
	v_dot4c_i32_i8_e32 v31, v2, v7
	v_dot4c_i32_i8_e32 v15, v3, v4
	v_dot4c_i32_i8_e32 v16, v3, v5
	v_dot4c_i32_i8_e32 v17, v3, v6
	v_dot4c_i32_i8_e32 v18, v3, v7
	s_waitcnt lgkmcnt(1)
	v_dot4c_i32_i8_e32 v56, v0, v86
	v_dot4c_i32_i8_e32 v63, v0, v87
	v_dot4c_i32_i8_e32 v64, v0, v88
	v_dot4c_i32_i8_e32 v65, v0, v89
	v_dot4c_i32_i8_e32 v55, v1, v86
	v_dot4c_i32_i8_e32 v59, v1, v87
	v_dot4c_i32_i8_e32 v60, v1, v88
	v_dot4c_i32_i8_e32 v61, v1, v89
	v_dot4c_i32_i8_e32 v41, v2, v86
	v_dot4c_i32_i8_e32 v49, v2, v87
	v_dot4c_i32_i8_e32 v50, v2, v88
	v_dot4c_i32_i8_e32 v51, v2, v89
	v_dot4c_i32_i8_e32 v42, v3, v86
	v_dot4c_i32_i8_e32 v52, v3, v87
	v_dot4c_i32_i8_e32 v53, v3, v88
	v_dot4c_i32_i8_e32 v54, v3, v89
	;; [unrolled: 17-line block ×3, first 2 shown]
	ds_read_b128 v[0:3], v58 offset:3584
	v_dot4c_i32_i8_e32 v25, v90, v86
	v_dot4c_i32_i8_e32 v32, v90, v87
	;; [unrolled: 1-line block ×16, first 2 shown]
	ds_read_b128 v[4:7], v62 offset:19968
	ds_read_b128 v[86:89], v62 offset:20224
	;; [unrolled: 1-line block ×3, first 2 shown]
	s_waitcnt lgkmcnt(2)
	v_dot4c_i32_i8_e32 v40, v0, v4
	v_dot4c_i32_i8_e32 v47, v0, v5
	v_dot4c_i32_i8_e32 v48, v0, v6
	v_dot4c_i32_i8_e32 v46, v0, v7
	v_dot4c_i32_i8_e32 v23, v1, v4
	v_dot4c_i32_i8_e32 v26, v1, v5
	v_dot4c_i32_i8_e32 v27, v1, v6
	v_dot4c_i32_i8_e32 v28, v1, v7
	v_dot4c_i32_i8_e32 v24, v2, v4
	v_dot4c_i32_i8_e32 v29, v2, v5
	v_dot4c_i32_i8_e32 v30, v2, v6
	v_dot4c_i32_i8_e32 v31, v2, v7
	v_dot4c_i32_i8_e32 v15, v3, v4
	v_dot4c_i32_i8_e32 v16, v3, v5
	v_dot4c_i32_i8_e32 v17, v3, v6
	v_dot4c_i32_i8_e32 v18, v3, v7
	s_waitcnt lgkmcnt(1)
	v_dot4c_i32_i8_e32 v56, v0, v86
	v_dot4c_i32_i8_e32 v63, v0, v87
	v_dot4c_i32_i8_e32 v64, v0, v88
	v_dot4c_i32_i8_e32 v65, v0, v89
	v_dot4c_i32_i8_e32 v55, v1, v86
	v_dot4c_i32_i8_e32 v59, v1, v87
	v_dot4c_i32_i8_e32 v60, v1, v88
	v_dot4c_i32_i8_e32 v61, v1, v89
	v_dot4c_i32_i8_e32 v41, v2, v86
	v_dot4c_i32_i8_e32 v49, v2, v87
	v_dot4c_i32_i8_e32 v50, v2, v88
	v_dot4c_i32_i8_e32 v51, v2, v89
	v_dot4c_i32_i8_e32 v42, v3, v86
	v_dot4c_i32_i8_e32 v52, v3, v87
	v_dot4c_i32_i8_e32 v53, v3, v88
	v_dot4c_i32_i8_e32 v54, v3, v89
	;; [unrolled: 17-line block ×3, first 2 shown]
	ds_read_b128 v[0:3], v58 offset:4096
	v_dot4c_i32_i8_e32 v25, v90, v86
	v_dot4c_i32_i8_e32 v32, v90, v87
	;; [unrolled: 1-line block ×16, first 2 shown]
	ds_read_b128 v[4:7], v62 offset:20480
	ds_read_b128 v[86:89], v62 offset:20736
	;; [unrolled: 1-line block ×3, first 2 shown]
	s_waitcnt lgkmcnt(2)
	v_dot4c_i32_i8_e32 v40, v0, v4
	v_dot4c_i32_i8_e32 v47, v0, v5
	v_dot4c_i32_i8_e32 v48, v0, v6
	v_dot4c_i32_i8_e32 v46, v0, v7
	v_dot4c_i32_i8_e32 v23, v1, v4
	v_dot4c_i32_i8_e32 v26, v1, v5
	v_dot4c_i32_i8_e32 v27, v1, v6
	v_dot4c_i32_i8_e32 v28, v1, v7
	v_dot4c_i32_i8_e32 v24, v2, v4
	v_dot4c_i32_i8_e32 v29, v2, v5
	v_dot4c_i32_i8_e32 v30, v2, v6
	v_dot4c_i32_i8_e32 v31, v2, v7
	v_dot4c_i32_i8_e32 v15, v3, v4
	v_dot4c_i32_i8_e32 v16, v3, v5
	v_dot4c_i32_i8_e32 v17, v3, v6
	v_dot4c_i32_i8_e32 v18, v3, v7
	s_waitcnt lgkmcnt(1)
	v_dot4c_i32_i8_e32 v56, v0, v86
	v_dot4c_i32_i8_e32 v63, v0, v87
	v_dot4c_i32_i8_e32 v64, v0, v88
	v_dot4c_i32_i8_e32 v65, v0, v89
	v_dot4c_i32_i8_e32 v55, v1, v86
	v_dot4c_i32_i8_e32 v59, v1, v87
	v_dot4c_i32_i8_e32 v60, v1, v88
	v_dot4c_i32_i8_e32 v61, v1, v89
	v_dot4c_i32_i8_e32 v41, v2, v86
	v_dot4c_i32_i8_e32 v49, v2, v87
	v_dot4c_i32_i8_e32 v50, v2, v88
	v_dot4c_i32_i8_e32 v51, v2, v89
	v_dot4c_i32_i8_e32 v42, v3, v86
	v_dot4c_i32_i8_e32 v52, v3, v87
	v_dot4c_i32_i8_e32 v53, v3, v88
	v_dot4c_i32_i8_e32 v54, v3, v89
	;; [unrolled: 17-line block ×3, first 2 shown]
	ds_read_b128 v[0:3], v58 offset:4608
	v_dot4c_i32_i8_e32 v25, v90, v86
	v_dot4c_i32_i8_e32 v32, v90, v87
	;; [unrolled: 1-line block ×16, first 2 shown]
	ds_read_b128 v[4:7], v62 offset:20992
	ds_read_b128 v[86:89], v62 offset:21248
	;; [unrolled: 1-line block ×3, first 2 shown]
	s_waitcnt lgkmcnt(2)
	v_dot4c_i32_i8_e32 v40, v0, v4
	v_dot4c_i32_i8_e32 v47, v0, v5
	v_dot4c_i32_i8_e32 v48, v0, v6
	v_dot4c_i32_i8_e32 v46, v0, v7
	v_dot4c_i32_i8_e32 v23, v1, v4
	v_dot4c_i32_i8_e32 v26, v1, v5
	v_dot4c_i32_i8_e32 v27, v1, v6
	v_dot4c_i32_i8_e32 v28, v1, v7
	v_dot4c_i32_i8_e32 v24, v2, v4
	v_dot4c_i32_i8_e32 v29, v2, v5
	v_dot4c_i32_i8_e32 v30, v2, v6
	v_dot4c_i32_i8_e32 v31, v2, v7
	v_dot4c_i32_i8_e32 v15, v3, v4
	v_dot4c_i32_i8_e32 v16, v3, v5
	v_dot4c_i32_i8_e32 v17, v3, v6
	v_dot4c_i32_i8_e32 v18, v3, v7
	s_waitcnt lgkmcnt(1)
	v_dot4c_i32_i8_e32 v56, v0, v86
	v_dot4c_i32_i8_e32 v63, v0, v87
	v_dot4c_i32_i8_e32 v64, v0, v88
	v_dot4c_i32_i8_e32 v65, v0, v89
	v_dot4c_i32_i8_e32 v55, v1, v86
	v_dot4c_i32_i8_e32 v59, v1, v87
	v_dot4c_i32_i8_e32 v60, v1, v88
	v_dot4c_i32_i8_e32 v61, v1, v89
	v_dot4c_i32_i8_e32 v41, v2, v86
	v_dot4c_i32_i8_e32 v49, v2, v87
	v_dot4c_i32_i8_e32 v50, v2, v88
	v_dot4c_i32_i8_e32 v51, v2, v89
	v_dot4c_i32_i8_e32 v42, v3, v86
	v_dot4c_i32_i8_e32 v52, v3, v87
	v_dot4c_i32_i8_e32 v53, v3, v88
	v_dot4c_i32_i8_e32 v54, v3, v89
	;; [unrolled: 17-line block ×3, first 2 shown]
	ds_read_b128 v[0:3], v58 offset:5120
	v_dot4c_i32_i8_e32 v25, v90, v86
	v_dot4c_i32_i8_e32 v32, v90, v87
	;; [unrolled: 1-line block ×16, first 2 shown]
	ds_read_b128 v[4:7], v62 offset:21504
	ds_read_b128 v[86:89], v62 offset:21760
	;; [unrolled: 1-line block ×3, first 2 shown]
	s_waitcnt lgkmcnt(2)
	v_dot4c_i32_i8_e32 v40, v0, v4
	v_dot4c_i32_i8_e32 v47, v0, v5
	v_dot4c_i32_i8_e32 v48, v0, v6
	v_dot4c_i32_i8_e32 v46, v0, v7
	v_dot4c_i32_i8_e32 v23, v1, v4
	v_dot4c_i32_i8_e32 v26, v1, v5
	v_dot4c_i32_i8_e32 v27, v1, v6
	v_dot4c_i32_i8_e32 v28, v1, v7
	v_dot4c_i32_i8_e32 v24, v2, v4
	v_dot4c_i32_i8_e32 v29, v2, v5
	v_dot4c_i32_i8_e32 v30, v2, v6
	v_dot4c_i32_i8_e32 v31, v2, v7
	v_dot4c_i32_i8_e32 v15, v3, v4
	v_dot4c_i32_i8_e32 v16, v3, v5
	v_dot4c_i32_i8_e32 v17, v3, v6
	v_dot4c_i32_i8_e32 v18, v3, v7
	s_waitcnt lgkmcnt(1)
	v_dot4c_i32_i8_e32 v56, v0, v86
	v_dot4c_i32_i8_e32 v63, v0, v87
	v_dot4c_i32_i8_e32 v64, v0, v88
	v_dot4c_i32_i8_e32 v65, v0, v89
	v_dot4c_i32_i8_e32 v55, v1, v86
	v_dot4c_i32_i8_e32 v59, v1, v87
	v_dot4c_i32_i8_e32 v60, v1, v88
	v_dot4c_i32_i8_e32 v61, v1, v89
	v_dot4c_i32_i8_e32 v41, v2, v86
	v_dot4c_i32_i8_e32 v49, v2, v87
	v_dot4c_i32_i8_e32 v50, v2, v88
	v_dot4c_i32_i8_e32 v51, v2, v89
	v_dot4c_i32_i8_e32 v42, v3, v86
	v_dot4c_i32_i8_e32 v52, v3, v87
	v_dot4c_i32_i8_e32 v53, v3, v88
	v_dot4c_i32_i8_e32 v54, v3, v89
	;; [unrolled: 17-line block ×3, first 2 shown]
	ds_read_b128 v[0:3], v58 offset:5632
	v_dot4c_i32_i8_e32 v25, v90, v86
	v_dot4c_i32_i8_e32 v32, v90, v87
	v_dot4c_i32_i8_e32 v33, v90, v88
	v_dot4c_i32_i8_e32 v34, v90, v89
	v_dot4c_i32_i8_e32 v39, v91, v86
	v_dot4c_i32_i8_e32 v43, v91, v87
	v_dot4c_i32_i8_e32 v44, v91, v88
	v_dot4c_i32_i8_e32 v45, v91, v89
	v_dot4c_i32_i8_e32 v69, v92, v86
	v_dot4c_i32_i8_e32 v70, v92, v87
	v_dot4c_i32_i8_e32 v71, v92, v88
	v_dot4c_i32_i8_e32 v72, v92, v89
	v_dot4c_i32_i8_e32 v73, v93, v86
	v_dot4c_i32_i8_e32 v74, v93, v87
	v_dot4c_i32_i8_e32 v75, v93, v88
	v_dot4c_i32_i8_e32 v10, v93, v89
	ds_read_b128 v[4:7], v62 offset:22016
	ds_read_b128 v[86:89], v62 offset:22272
	;; [unrolled: 1-line block ×3, first 2 shown]
	s_waitcnt lgkmcnt(2)
	v_dot4c_i32_i8_e32 v40, v0, v4
	v_dot4c_i32_i8_e32 v47, v0, v5
	v_dot4c_i32_i8_e32 v48, v0, v6
	v_dot4c_i32_i8_e32 v46, v0, v7
	v_dot4c_i32_i8_e32 v23, v1, v4
	v_dot4c_i32_i8_e32 v26, v1, v5
	v_dot4c_i32_i8_e32 v27, v1, v6
	v_dot4c_i32_i8_e32 v28, v1, v7
	v_dot4c_i32_i8_e32 v24, v2, v4
	v_dot4c_i32_i8_e32 v29, v2, v5
	v_dot4c_i32_i8_e32 v30, v2, v6
	v_dot4c_i32_i8_e32 v31, v2, v7
	v_dot4c_i32_i8_e32 v15, v3, v4
	v_dot4c_i32_i8_e32 v16, v3, v5
	v_dot4c_i32_i8_e32 v17, v3, v6
	v_dot4c_i32_i8_e32 v18, v3, v7
	s_waitcnt lgkmcnt(1)
	v_dot4c_i32_i8_e32 v56, v0, v86
	v_dot4c_i32_i8_e32 v63, v0, v87
	v_dot4c_i32_i8_e32 v64, v0, v88
	v_dot4c_i32_i8_e32 v65, v0, v89
	v_dot4c_i32_i8_e32 v55, v1, v86
	v_dot4c_i32_i8_e32 v59, v1, v87
	v_dot4c_i32_i8_e32 v60, v1, v88
	v_dot4c_i32_i8_e32 v61, v1, v89
	v_dot4c_i32_i8_e32 v41, v2, v86
	v_dot4c_i32_i8_e32 v49, v2, v87
	v_dot4c_i32_i8_e32 v50, v2, v88
	v_dot4c_i32_i8_e32 v51, v2, v89
	v_dot4c_i32_i8_e32 v42, v3, v86
	v_dot4c_i32_i8_e32 v52, v3, v87
	v_dot4c_i32_i8_e32 v53, v3, v88
	v_dot4c_i32_i8_e32 v54, v3, v89
	;; [unrolled: 17-line block ×3, first 2 shown]
	ds_read_b128 v[0:3], v58 offset:6144
	v_dot4c_i32_i8_e32 v25, v90, v86
	v_dot4c_i32_i8_e32 v32, v90, v87
	;; [unrolled: 1-line block ×16, first 2 shown]
	ds_read_b128 v[4:7], v62 offset:22528
	ds_read_b128 v[86:89], v62 offset:22784
	;; [unrolled: 1-line block ×3, first 2 shown]
	s_waitcnt lgkmcnt(2)
	v_dot4c_i32_i8_e32 v40, v0, v4
	v_dot4c_i32_i8_e32 v47, v0, v5
	v_dot4c_i32_i8_e32 v48, v0, v6
	v_dot4c_i32_i8_e32 v46, v0, v7
	v_dot4c_i32_i8_e32 v23, v1, v4
	v_dot4c_i32_i8_e32 v26, v1, v5
	v_dot4c_i32_i8_e32 v27, v1, v6
	v_dot4c_i32_i8_e32 v28, v1, v7
	v_dot4c_i32_i8_e32 v24, v2, v4
	v_dot4c_i32_i8_e32 v29, v2, v5
	v_dot4c_i32_i8_e32 v30, v2, v6
	v_dot4c_i32_i8_e32 v31, v2, v7
	v_dot4c_i32_i8_e32 v15, v3, v4
	v_dot4c_i32_i8_e32 v16, v3, v5
	v_dot4c_i32_i8_e32 v17, v3, v6
	v_dot4c_i32_i8_e32 v18, v3, v7
	s_waitcnt lgkmcnt(1)
	v_dot4c_i32_i8_e32 v56, v0, v86
	v_dot4c_i32_i8_e32 v63, v0, v87
	v_dot4c_i32_i8_e32 v64, v0, v88
	v_dot4c_i32_i8_e32 v65, v0, v89
	v_dot4c_i32_i8_e32 v55, v1, v86
	v_dot4c_i32_i8_e32 v59, v1, v87
	v_dot4c_i32_i8_e32 v60, v1, v88
	v_dot4c_i32_i8_e32 v61, v1, v89
	v_dot4c_i32_i8_e32 v41, v2, v86
	v_dot4c_i32_i8_e32 v49, v2, v87
	v_dot4c_i32_i8_e32 v50, v2, v88
	v_dot4c_i32_i8_e32 v51, v2, v89
	v_dot4c_i32_i8_e32 v42, v3, v86
	v_dot4c_i32_i8_e32 v52, v3, v87
	v_dot4c_i32_i8_e32 v53, v3, v88
	v_dot4c_i32_i8_e32 v54, v3, v89
	;; [unrolled: 17-line block ×3, first 2 shown]
	ds_read_b128 v[0:3], v58 offset:6656
	v_dot4c_i32_i8_e32 v25, v90, v86
	v_dot4c_i32_i8_e32 v32, v90, v87
	;; [unrolled: 1-line block ×16, first 2 shown]
	ds_read_b128 v[4:7], v62 offset:23040
	ds_read_b128 v[86:89], v62 offset:23296
	;; [unrolled: 1-line block ×3, first 2 shown]
	s_waitcnt lgkmcnt(2)
	v_dot4c_i32_i8_e32 v40, v0, v4
	v_dot4c_i32_i8_e32 v47, v0, v5
	v_dot4c_i32_i8_e32 v48, v0, v6
	v_dot4c_i32_i8_e32 v46, v0, v7
	v_dot4c_i32_i8_e32 v23, v1, v4
	v_dot4c_i32_i8_e32 v26, v1, v5
	v_dot4c_i32_i8_e32 v27, v1, v6
	v_dot4c_i32_i8_e32 v28, v1, v7
	v_dot4c_i32_i8_e32 v24, v2, v4
	v_dot4c_i32_i8_e32 v29, v2, v5
	v_dot4c_i32_i8_e32 v30, v2, v6
	v_dot4c_i32_i8_e32 v31, v2, v7
	v_dot4c_i32_i8_e32 v15, v3, v4
	v_dot4c_i32_i8_e32 v16, v3, v5
	v_dot4c_i32_i8_e32 v17, v3, v6
	v_dot4c_i32_i8_e32 v18, v3, v7
	s_waitcnt lgkmcnt(1)
	v_dot4c_i32_i8_e32 v56, v0, v86
	v_dot4c_i32_i8_e32 v63, v0, v87
	v_dot4c_i32_i8_e32 v64, v0, v88
	v_dot4c_i32_i8_e32 v65, v0, v89
	v_dot4c_i32_i8_e32 v55, v1, v86
	v_dot4c_i32_i8_e32 v59, v1, v87
	v_dot4c_i32_i8_e32 v60, v1, v88
	v_dot4c_i32_i8_e32 v61, v1, v89
	v_dot4c_i32_i8_e32 v41, v2, v86
	v_dot4c_i32_i8_e32 v49, v2, v87
	v_dot4c_i32_i8_e32 v50, v2, v88
	v_dot4c_i32_i8_e32 v51, v2, v89
	v_dot4c_i32_i8_e32 v42, v3, v86
	v_dot4c_i32_i8_e32 v52, v3, v87
	v_dot4c_i32_i8_e32 v53, v3, v88
	v_dot4c_i32_i8_e32 v54, v3, v89
	s_waitcnt lgkmcnt(0)
	v_dot4c_i32_i8_e32 v11, v90, v4
	v_dot4c_i32_i8_e32 v12, v90, v5
	v_dot4c_i32_i8_e32 v13, v90, v6
	v_dot4c_i32_i8_e32 v14, v90, v7
	v_dot4c_i32_i8_e32 v19, v91, v4
	v_dot4c_i32_i8_e32 v20, v91, v5
	v_dot4c_i32_i8_e32 v21, v91, v6
	v_dot4c_i32_i8_e32 v22, v91, v7
	v_dot4c_i32_i8_e32 v35, v92, v4
	v_dot4c_i32_i8_e32 v36, v92, v5
	v_dot4c_i32_i8_e32 v37, v92, v6
	v_dot4c_i32_i8_e32 v38, v92, v7
	v_dot4c_i32_i8_e32 v57, v93, v4
	v_dot4c_i32_i8_e32 v66, v93, v5
	v_dot4c_i32_i8_e32 v67, v93, v6
	v_dot4c_i32_i8_e32 v68, v93, v7
	ds_read_b128 v[0:3], v58 offset:7168
	v_dot4c_i32_i8_e32 v25, v90, v86
	v_dot4c_i32_i8_e32 v32, v90, v87
	;; [unrolled: 1-line block ×16, first 2 shown]
	ds_read_b128 v[4:7], v62 offset:23552
	ds_read_b128 v[86:89], v62 offset:23808
	;; [unrolled: 1-line block ×4, first 2 shown]
	s_waitcnt lgkmcnt(3)
	v_dot4c_i32_i8_e32 v40, v0, v4
	v_dot4c_i32_i8_e32 v47, v0, v5
	v_dot4c_i32_i8_e32 v48, v0, v6
	v_dot4c_i32_i8_e32 v46, v0, v7
	v_dot4c_i32_i8_e32 v23, v1, v4
	v_dot4c_i32_i8_e32 v26, v1, v5
	v_dot4c_i32_i8_e32 v27, v1, v6
	v_dot4c_i32_i8_e32 v28, v1, v7
	v_dot4c_i32_i8_e32 v24, v2, v4
	v_dot4c_i32_i8_e32 v29, v2, v5
	v_dot4c_i32_i8_e32 v30, v2, v6
	v_dot4c_i32_i8_e32 v31, v2, v7
	v_dot4c_i32_i8_e32 v15, v3, v4
	v_dot4c_i32_i8_e32 v16, v3, v5
	v_dot4c_i32_i8_e32 v17, v3, v6
	v_dot4c_i32_i8_e32 v18, v3, v7
	s_waitcnt lgkmcnt(2)
	v_dot4c_i32_i8_e32 v56, v0, v86
	v_dot4c_i32_i8_e32 v63, v0, v87
	v_dot4c_i32_i8_e32 v64, v0, v88
	v_dot4c_i32_i8_e32 v65, v0, v89
	v_dot4c_i32_i8_e32 v55, v1, v86
	v_dot4c_i32_i8_e32 v59, v1, v87
	v_dot4c_i32_i8_e32 v60, v1, v88
	v_dot4c_i32_i8_e32 v61, v1, v89
	v_dot4c_i32_i8_e32 v41, v2, v86
	v_dot4c_i32_i8_e32 v49, v2, v87
	v_dot4c_i32_i8_e32 v50, v2, v88
	v_dot4c_i32_i8_e32 v51, v2, v89
	v_dot4c_i32_i8_e32 v42, v3, v86
	v_dot4c_i32_i8_e32 v52, v3, v87
	v_dot4c_i32_i8_e32 v53, v3, v88
	v_dot4c_i32_i8_e32 v54, v3, v89
	;; [unrolled: 17-line block ×3, first 2 shown]
	v_dot4c_i32_i8_e32 v25, v90, v86
	v_dot4c_i32_i8_e32 v32, v90, v87
	;; [unrolled: 1-line block ×16, first 2 shown]
	ds_read_b128 v[86:89], v62 offset:24064
	ds_read_b128 v[0:3], v62 offset:24320
	;; [unrolled: 1-line block ×3, first 2 shown]
	buffer_load_dword v85, v84, s[16:19], 0 offen
	buffer_load_dword v90, v83, s[16:19], 0 offen
	;; [unrolled: 1-line block ×4, first 2 shown]
	v_add_u32_e32 v81, s10, v81
	v_subrev_u32_e32 v82, s7, v81
	v_subrev_u32_e32 v83, s7, v82
	s_waitcnt lgkmcnt(2)
	v_dot4c_i32_i8_e32 v40, v94, v86
	v_dot4c_i32_i8_e32 v47, v94, v87
	;; [unrolled: 1-line block ×16, first 2 shown]
	s_waitcnt lgkmcnt(0)
	v_dot4c_i32_i8_e32 v11, v4, v86
	v_dot4c_i32_i8_e32 v12, v4, v87
	;; [unrolled: 1-line block ×16, first 2 shown]
	v_subrev_u32_e32 v84, s7, v83
	buffer_load_dword v86, v81, s[16:19], 0 offen
	buffer_load_dword v87, v83, s[16:19], 0 offen
	;; [unrolled: 1-line block ×4, first 2 shown]
	s_mul_i32 s7, s5, 60
	v_add_u32_e32 v80, s7, v80
	v_add_u32_e32 v79, s7, v79
	;; [unrolled: 1-line block ×4, first 2 shown]
	v_dot4c_i32_i8_e32 v56, v94, v0
	v_dot4c_i32_i8_e32 v63, v94, v1
	;; [unrolled: 1-line block ×32, first 2 shown]
	s_waitcnt vmcnt(6)
	v_perm_b32 v81, v85, v90, s2
	v_perm_b32 v83, v85, v90, s4
	s_waitcnt vmcnt(4)
	v_perm_b32 v82, v91, v92, s2
	v_perm_b32 v84, v91, v92, s4
	v_lshl_or_b32 v82, v82, 16, v81
	v_lshl_or_b32 v83, v84, 16, v83
	v_perm_b32 v81, v85, v90, s6
	v_perm_b32 v84, v91, v92, s6
	v_lshl_or_b32 v84, v84, 16, v81
	v_perm_b32 v81, v85, v90, s8
	v_perm_b32 v85, v91, v92, s8
	buffer_load_dword v90, v80, s[20:23], 0 offen
	buffer_load_dword v91, v79, s[20:23], 0 offen
	;; [unrolled: 1-line block ×4, first 2 shown]
	v_add_u32_e32 v77, s9, v77
	v_lshl_or_b32 v85, v85, 16, v81
	ds_write_b128 v76, v[82:85] offset:8192
	s_waitcnt vmcnt(5)
	v_perm_b32 v78, v88, v87, s2
	s_waitcnt vmcnt(4)
	v_perm_b32 v79, v89, v86, s2
	v_lshl_or_b32 v78, v79, 16, v78
	v_perm_b32 v79, v88, v87, s4
	v_perm_b32 v80, v89, v86, s4
	v_lshl_or_b32 v79, v80, 16, v79
	v_perm_b32 v80, v88, v87, s6
	v_perm_b32 v81, v89, v86, s6
	v_lshl_or_b32 v80, v81, 16, v80
	v_subrev_u32_e32 v81, s5, v77
	v_subrev_u32_e32 v82, s5, v81
	v_perm_b32 v83, v88, v87, s8
	v_subrev_u32_e32 v84, s5, v82
	buffer_load_dword v85, v77, s[20:23], 0 offen
	buffer_load_dword v87, v82, s[20:23], 0 offen
	;; [unrolled: 1-line block ×4, first 2 shown]
	v_perm_b32 v0, v89, v86, s8
	v_lshl_or_b32 v81, v0, 16, v83
	ds_write_b128 v76, v[78:81] offset:8704
	s_waitcnt vmcnt(6)
	v_perm_b32 v0, v90, v91, s2
	s_waitcnt vmcnt(4)
	v_perm_b32 v1, v92, v93, s2
	v_lshl_or_b32 v78, v1, 16, v0
	v_perm_b32 v0, v90, v91, s4
	v_perm_b32 v1, v92, v93, s4
	v_lshl_or_b32 v79, v1, 16, v0
	v_perm_b32 v0, v90, v91, s6
	;; [unrolled: 3-line block ×3, first 2 shown]
	v_perm_b32 v1, v92, v93, s8
	v_lshl_or_b32 v81, v1, 16, v0
	ds_write_b128 v76, v[78:81] offset:24576
	s_waitcnt vmcnt(1)
	v_perm_b32 v0, v88, v87, s2
	s_waitcnt vmcnt(0)
	v_perm_b32 v1, v94, v85, s2
	v_lshl_or_b32 v78, v1, 16, v0
	v_perm_b32 v0, v88, v87, s4
	v_perm_b32 v1, v94, v85, s4
	v_lshl_or_b32 v79, v1, 16, v0
	v_perm_b32 v0, v88, v87, s6
	;; [unrolled: 3-line block ×3, first 2 shown]
	v_perm_b32 v1, v94, v85, s8
	v_lshl_or_b32 v81, v1, 16, v0
	ds_write_b128 v76, v[78:81] offset:25088
	s_waitcnt lgkmcnt(0)
	s_barrier
	ds_read_b128 v[76:79], v58 offset:8192
	ds_read_b128 v[80:83], v62 offset:24576
	;; [unrolled: 1-line block ×4, first 2 shown]
	s_waitcnt lgkmcnt(2)
	v_dot4c_i32_i8_e32 v40, v76, v80
	v_dot4c_i32_i8_e32 v47, v76, v81
	;; [unrolled: 1-line block ×16, first 2 shown]
	s_waitcnt lgkmcnt(1)
	v_dot4c_i32_i8_e32 v56, v76, v0
	v_dot4c_i32_i8_e32 v63, v76, v1
	;; [unrolled: 1-line block ×16, first 2 shown]
	ds_read_b128 v[76:79], v58 offset:8704
	s_waitcnt lgkmcnt(1)
	v_dot4c_i32_i8_e32 v11, v4, v80
	v_dot4c_i32_i8_e32 v12, v4, v81
	;; [unrolled: 1-line block ×16, first 2 shown]
	ds_read_b128 v[80:83], v62 offset:25088
	v_dot4c_i32_i8_e32 v25, v4, v0
	v_dot4c_i32_i8_e32 v32, v4, v1
	;; [unrolled: 1-line block ×16, first 2 shown]
	ds_read_b128 v[0:3], v62 offset:25344
	ds_read_b128 v[4:7], v58 offset:8960
	s_waitcnt lgkmcnt(2)
	v_dot4c_i32_i8_e32 v40, v76, v80
	v_dot4c_i32_i8_e32 v47, v76, v81
	;; [unrolled: 1-line block ×16, first 2 shown]
	s_waitcnt lgkmcnt(1)
	v_dot4c_i32_i8_e32 v56, v76, v0
	v_dot4c_i32_i8_e32 v63, v76, v1
	;; [unrolled: 1-line block ×16, first 2 shown]
	ds_read_b128 v[76:79], v58 offset:9216
	s_waitcnt lgkmcnt(1)
	v_dot4c_i32_i8_e32 v11, v4, v80
	v_dot4c_i32_i8_e32 v12, v4, v81
	;; [unrolled: 1-line block ×16, first 2 shown]
	ds_read_b128 v[80:83], v62 offset:25600
	v_dot4c_i32_i8_e32 v25, v4, v0
	v_dot4c_i32_i8_e32 v32, v4, v1
	;; [unrolled: 1-line block ×16, first 2 shown]
	ds_read_b128 v[0:3], v62 offset:25856
	ds_read_b128 v[4:7], v58 offset:9472
	s_waitcnt lgkmcnt(2)
	v_dot4c_i32_i8_e32 v40, v76, v80
	v_dot4c_i32_i8_e32 v47, v76, v81
	;; [unrolled: 1-line block ×16, first 2 shown]
	s_waitcnt lgkmcnt(1)
	v_dot4c_i32_i8_e32 v56, v76, v0
	v_dot4c_i32_i8_e32 v63, v76, v1
	v_dot4c_i32_i8_e32 v64, v76, v2
	v_dot4c_i32_i8_e32 v65, v76, v3
	v_dot4c_i32_i8_e32 v55, v77, v0
	v_dot4c_i32_i8_e32 v59, v77, v1
	v_dot4c_i32_i8_e32 v60, v77, v2
	v_dot4c_i32_i8_e32 v61, v77, v3
	v_dot4c_i32_i8_e32 v41, v78, v0
	v_dot4c_i32_i8_e32 v49, v78, v1
	v_dot4c_i32_i8_e32 v50, v78, v2
	v_dot4c_i32_i8_e32 v51, v78, v3
	v_dot4c_i32_i8_e32 v42, v79, v0
	v_dot4c_i32_i8_e32 v52, v79, v1
	v_dot4c_i32_i8_e32 v53, v79, v2
	v_dot4c_i32_i8_e32 v54, v79, v3
	ds_read_b128 v[76:79], v58 offset:9728
	s_waitcnt lgkmcnt(1)
	v_dot4c_i32_i8_e32 v11, v4, v80
	v_dot4c_i32_i8_e32 v12, v4, v81
	;; [unrolled: 1-line block ×16, first 2 shown]
	ds_read_b128 v[80:83], v62 offset:26112
	v_dot4c_i32_i8_e32 v25, v4, v0
	v_dot4c_i32_i8_e32 v32, v4, v1
	;; [unrolled: 1-line block ×16, first 2 shown]
	ds_read_b128 v[0:3], v62 offset:26368
	ds_read_b128 v[4:7], v58 offset:9984
	s_waitcnt lgkmcnt(2)
	v_dot4c_i32_i8_e32 v40, v76, v80
	v_dot4c_i32_i8_e32 v47, v76, v81
	;; [unrolled: 1-line block ×16, first 2 shown]
	s_waitcnt lgkmcnt(1)
	v_dot4c_i32_i8_e32 v56, v76, v0
	v_dot4c_i32_i8_e32 v63, v76, v1
	;; [unrolled: 1-line block ×16, first 2 shown]
	ds_read_b128 v[76:79], v58 offset:10240
	s_waitcnt lgkmcnt(1)
	v_dot4c_i32_i8_e32 v11, v4, v80
	v_dot4c_i32_i8_e32 v12, v4, v81
	;; [unrolled: 1-line block ×16, first 2 shown]
	ds_read_b128 v[80:83], v62 offset:26624
	v_dot4c_i32_i8_e32 v25, v4, v0
	v_dot4c_i32_i8_e32 v32, v4, v1
	;; [unrolled: 1-line block ×16, first 2 shown]
	ds_read_b128 v[0:3], v62 offset:26880
	ds_read_b128 v[4:7], v58 offset:10496
	s_waitcnt lgkmcnt(2)
	v_dot4c_i32_i8_e32 v40, v76, v80
	v_dot4c_i32_i8_e32 v47, v76, v81
	;; [unrolled: 1-line block ×16, first 2 shown]
	s_waitcnt lgkmcnt(1)
	v_dot4c_i32_i8_e32 v56, v76, v0
	v_dot4c_i32_i8_e32 v63, v76, v1
	;; [unrolled: 1-line block ×16, first 2 shown]
	ds_read_b128 v[76:79], v58 offset:10752
	s_waitcnt lgkmcnt(1)
	v_dot4c_i32_i8_e32 v11, v4, v80
	v_dot4c_i32_i8_e32 v12, v4, v81
	;; [unrolled: 1-line block ×16, first 2 shown]
	ds_read_b128 v[80:83], v62 offset:27136
	v_dot4c_i32_i8_e32 v25, v4, v0
	v_dot4c_i32_i8_e32 v32, v4, v1
	;; [unrolled: 1-line block ×16, first 2 shown]
	ds_read_b128 v[0:3], v62 offset:27392
	ds_read_b128 v[4:7], v58 offset:11008
	s_waitcnt lgkmcnt(2)
	v_dot4c_i32_i8_e32 v40, v76, v80
	v_dot4c_i32_i8_e32 v47, v76, v81
	;; [unrolled: 1-line block ×16, first 2 shown]
	s_waitcnt lgkmcnt(1)
	v_dot4c_i32_i8_e32 v56, v76, v0
	v_dot4c_i32_i8_e32 v63, v76, v1
	;; [unrolled: 1-line block ×16, first 2 shown]
	ds_read_b128 v[76:79], v58 offset:11264
	s_waitcnt lgkmcnt(1)
	v_dot4c_i32_i8_e32 v11, v4, v80
	v_dot4c_i32_i8_e32 v12, v4, v81
	;; [unrolled: 1-line block ×16, first 2 shown]
	ds_read_b128 v[80:83], v62 offset:27648
	v_dot4c_i32_i8_e32 v25, v4, v0
	v_dot4c_i32_i8_e32 v32, v4, v1
	;; [unrolled: 1-line block ×16, first 2 shown]
	ds_read_b128 v[0:3], v62 offset:27904
	ds_read_b128 v[4:7], v58 offset:11520
	s_waitcnt lgkmcnt(2)
	v_dot4c_i32_i8_e32 v40, v76, v80
	v_dot4c_i32_i8_e32 v47, v76, v81
	;; [unrolled: 1-line block ×16, first 2 shown]
	s_waitcnt lgkmcnt(1)
	v_dot4c_i32_i8_e32 v56, v76, v0
	v_dot4c_i32_i8_e32 v63, v76, v1
	;; [unrolled: 1-line block ×16, first 2 shown]
	ds_read_b128 v[76:79], v58 offset:11776
	s_waitcnt lgkmcnt(1)
	v_dot4c_i32_i8_e32 v11, v4, v80
	v_dot4c_i32_i8_e32 v12, v4, v81
	;; [unrolled: 1-line block ×16, first 2 shown]
	ds_read_b128 v[80:83], v62 offset:28160
	v_dot4c_i32_i8_e32 v25, v4, v0
	v_dot4c_i32_i8_e32 v32, v4, v1
	;; [unrolled: 1-line block ×16, first 2 shown]
	ds_read_b128 v[0:3], v62 offset:28416
	ds_read_b128 v[4:7], v58 offset:12032
	s_waitcnt lgkmcnt(2)
	v_dot4c_i32_i8_e32 v40, v76, v80
	v_dot4c_i32_i8_e32 v47, v76, v81
	;; [unrolled: 1-line block ×16, first 2 shown]
	s_waitcnt lgkmcnt(1)
	v_dot4c_i32_i8_e32 v56, v76, v0
	v_dot4c_i32_i8_e32 v63, v76, v1
	;; [unrolled: 1-line block ×16, first 2 shown]
	ds_read_b128 v[76:79], v58 offset:12288
	s_waitcnt lgkmcnt(1)
	v_dot4c_i32_i8_e32 v11, v4, v80
	v_dot4c_i32_i8_e32 v12, v4, v81
	;; [unrolled: 1-line block ×16, first 2 shown]
	ds_read_b128 v[80:83], v62 offset:28672
	v_dot4c_i32_i8_e32 v25, v4, v0
	v_dot4c_i32_i8_e32 v32, v4, v1
	;; [unrolled: 1-line block ×16, first 2 shown]
	ds_read_b128 v[0:3], v62 offset:28928
	ds_read_b128 v[4:7], v58 offset:12544
	s_waitcnt lgkmcnt(2)
	v_dot4c_i32_i8_e32 v40, v76, v80
	v_dot4c_i32_i8_e32 v47, v76, v81
	;; [unrolled: 1-line block ×16, first 2 shown]
	s_waitcnt lgkmcnt(1)
	v_dot4c_i32_i8_e32 v56, v76, v0
	v_dot4c_i32_i8_e32 v63, v76, v1
	;; [unrolled: 1-line block ×16, first 2 shown]
	ds_read_b128 v[76:79], v58 offset:12800
	s_waitcnt lgkmcnt(1)
	v_dot4c_i32_i8_e32 v11, v4, v80
	v_dot4c_i32_i8_e32 v12, v4, v81
	;; [unrolled: 1-line block ×16, first 2 shown]
	ds_read_b128 v[80:83], v62 offset:29184
	v_dot4c_i32_i8_e32 v25, v4, v0
	v_dot4c_i32_i8_e32 v32, v4, v1
	;; [unrolled: 1-line block ×16, first 2 shown]
	ds_read_b128 v[0:3], v62 offset:29440
	ds_read_b128 v[4:7], v58 offset:13056
	s_waitcnt lgkmcnt(2)
	v_dot4c_i32_i8_e32 v40, v76, v80
	v_dot4c_i32_i8_e32 v47, v76, v81
	;; [unrolled: 1-line block ×16, first 2 shown]
	s_waitcnt lgkmcnt(1)
	v_dot4c_i32_i8_e32 v56, v76, v0
	v_dot4c_i32_i8_e32 v63, v76, v1
	;; [unrolled: 1-line block ×16, first 2 shown]
	ds_read_b128 v[76:79], v58 offset:13312
	s_waitcnt lgkmcnt(1)
	v_dot4c_i32_i8_e32 v11, v4, v80
	v_dot4c_i32_i8_e32 v12, v4, v81
	;; [unrolled: 1-line block ×16, first 2 shown]
	ds_read_b128 v[80:83], v62 offset:29696
	v_dot4c_i32_i8_e32 v25, v4, v0
	v_dot4c_i32_i8_e32 v32, v4, v1
	v_dot4c_i32_i8_e32 v33, v4, v2
	v_dot4c_i32_i8_e32 v34, v4, v3
	v_dot4c_i32_i8_e32 v39, v5, v0
	v_dot4c_i32_i8_e32 v43, v5, v1
	v_dot4c_i32_i8_e32 v44, v5, v2
	v_dot4c_i32_i8_e32 v45, v5, v3
	v_dot4c_i32_i8_e32 v69, v6, v0
	v_dot4c_i32_i8_e32 v70, v6, v1
	v_dot4c_i32_i8_e32 v71, v6, v2
	v_dot4c_i32_i8_e32 v72, v6, v3
	v_dot4c_i32_i8_e32 v73, v7, v0
	v_dot4c_i32_i8_e32 v74, v7, v1
	v_dot4c_i32_i8_e32 v75, v7, v2
	v_dot4c_i32_i8_e32 v10, v7, v3
	ds_read_b128 v[0:3], v62 offset:29952
	ds_read_b128 v[4:7], v58 offset:13568
	s_waitcnt lgkmcnt(2)
	v_dot4c_i32_i8_e32 v40, v76, v80
	v_dot4c_i32_i8_e32 v47, v76, v81
	;; [unrolled: 1-line block ×16, first 2 shown]
	s_waitcnt lgkmcnt(1)
	v_dot4c_i32_i8_e32 v56, v76, v0
	v_dot4c_i32_i8_e32 v63, v76, v1
	v_dot4c_i32_i8_e32 v64, v76, v2
	v_dot4c_i32_i8_e32 v65, v76, v3
	v_dot4c_i32_i8_e32 v55, v77, v0
	v_dot4c_i32_i8_e32 v59, v77, v1
	v_dot4c_i32_i8_e32 v60, v77, v2
	v_dot4c_i32_i8_e32 v61, v77, v3
	v_dot4c_i32_i8_e32 v41, v78, v0
	v_dot4c_i32_i8_e32 v49, v78, v1
	v_dot4c_i32_i8_e32 v50, v78, v2
	v_dot4c_i32_i8_e32 v51, v78, v3
	v_dot4c_i32_i8_e32 v42, v79, v0
	v_dot4c_i32_i8_e32 v52, v79, v1
	v_dot4c_i32_i8_e32 v53, v79, v2
	v_dot4c_i32_i8_e32 v54, v79, v3
	ds_read_b128 v[76:79], v58 offset:13824
	s_waitcnt lgkmcnt(1)
	v_dot4c_i32_i8_e32 v11, v4, v80
	v_dot4c_i32_i8_e32 v12, v4, v81
	v_dot4c_i32_i8_e32 v13, v4, v82
	v_dot4c_i32_i8_e32 v14, v4, v83
	v_dot4c_i32_i8_e32 v19, v5, v80
	v_dot4c_i32_i8_e32 v20, v5, v81
	v_dot4c_i32_i8_e32 v21, v5, v82
	v_dot4c_i32_i8_e32 v22, v5, v83
	v_dot4c_i32_i8_e32 v35, v6, v80
	v_dot4c_i32_i8_e32 v36, v6, v81
	v_dot4c_i32_i8_e32 v37, v6, v82
	v_dot4c_i32_i8_e32 v38, v6, v83
	v_dot4c_i32_i8_e32 v57, v7, v80
	v_dot4c_i32_i8_e32 v66, v7, v81
	v_dot4c_i32_i8_e32 v67, v7, v82
	v_dot4c_i32_i8_e32 v68, v7, v83
	ds_read_b128 v[80:83], v62 offset:30208
	v_dot4c_i32_i8_e32 v25, v4, v0
	v_dot4c_i32_i8_e32 v32, v4, v1
	v_dot4c_i32_i8_e32 v33, v4, v2
	v_dot4c_i32_i8_e32 v34, v4, v3
	v_dot4c_i32_i8_e32 v39, v5, v0
	v_dot4c_i32_i8_e32 v43, v5, v1
	v_dot4c_i32_i8_e32 v44, v5, v2
	v_dot4c_i32_i8_e32 v45, v5, v3
	v_dot4c_i32_i8_e32 v69, v6, v0
	v_dot4c_i32_i8_e32 v70, v6, v1
	v_dot4c_i32_i8_e32 v71, v6, v2
	v_dot4c_i32_i8_e32 v72, v6, v3
	v_dot4c_i32_i8_e32 v73, v7, v0
	v_dot4c_i32_i8_e32 v74, v7, v1
	v_dot4c_i32_i8_e32 v75, v7, v2
	v_dot4c_i32_i8_e32 v10, v7, v3
	ds_read_b128 v[0:3], v62 offset:30464
	ds_read_b128 v[4:7], v58 offset:14080
	s_waitcnt lgkmcnt(2)
	v_dot4c_i32_i8_e32 v40, v76, v80
	v_dot4c_i32_i8_e32 v47, v76, v81
	;; [unrolled: 1-line block ×16, first 2 shown]
	s_waitcnt lgkmcnt(1)
	v_dot4c_i32_i8_e32 v56, v76, v0
	v_dot4c_i32_i8_e32 v63, v76, v1
	;; [unrolled: 1-line block ×16, first 2 shown]
	ds_read_b128 v[76:79], v58 offset:14336
	s_waitcnt lgkmcnt(1)
	v_dot4c_i32_i8_e32 v11, v4, v80
	v_dot4c_i32_i8_e32 v12, v4, v81
	;; [unrolled: 1-line block ×16, first 2 shown]
	ds_read_b128 v[80:83], v62 offset:30720
	v_dot4c_i32_i8_e32 v25, v4, v0
	v_dot4c_i32_i8_e32 v32, v4, v1
	;; [unrolled: 1-line block ×16, first 2 shown]
	ds_read_b128 v[0:3], v62 offset:30976
	ds_read_b128 v[4:7], v58 offset:14592
	s_waitcnt lgkmcnt(2)
	v_dot4c_i32_i8_e32 v40, v76, v80
	v_dot4c_i32_i8_e32 v47, v76, v81
	;; [unrolled: 1-line block ×16, first 2 shown]
	s_waitcnt lgkmcnt(1)
	v_dot4c_i32_i8_e32 v56, v76, v0
	v_dot4c_i32_i8_e32 v63, v76, v1
	;; [unrolled: 1-line block ×16, first 2 shown]
	ds_read_b128 v[76:79], v58 offset:14848
	s_waitcnt lgkmcnt(1)
	v_dot4c_i32_i8_e32 v11, v4, v80
	v_dot4c_i32_i8_e32 v12, v4, v81
	;; [unrolled: 1-line block ×16, first 2 shown]
	ds_read_b128 v[80:83], v62 offset:31232
	v_dot4c_i32_i8_e32 v25, v4, v0
	v_dot4c_i32_i8_e32 v32, v4, v1
	;; [unrolled: 1-line block ×16, first 2 shown]
	ds_read_b128 v[0:3], v62 offset:31488
	ds_read_b128 v[4:7], v58 offset:15104
	s_waitcnt lgkmcnt(2)
	v_dot4c_i32_i8_e32 v40, v76, v80
	v_dot4c_i32_i8_e32 v47, v76, v81
	v_dot4c_i32_i8_e32 v48, v76, v82
	v_dot4c_i32_i8_e32 v46, v76, v83
	v_dot4c_i32_i8_e32 v23, v77, v80
	v_dot4c_i32_i8_e32 v26, v77, v81
	v_dot4c_i32_i8_e32 v27, v77, v82
	v_dot4c_i32_i8_e32 v28, v77, v83
	v_dot4c_i32_i8_e32 v24, v78, v80
	v_dot4c_i32_i8_e32 v29, v78, v81
	v_dot4c_i32_i8_e32 v30, v78, v82
	v_dot4c_i32_i8_e32 v31, v78, v83
	v_dot4c_i32_i8_e32 v15, v79, v80
	v_dot4c_i32_i8_e32 v16, v79, v81
	v_dot4c_i32_i8_e32 v17, v79, v82
	v_dot4c_i32_i8_e32 v18, v79, v83
	s_waitcnt lgkmcnt(1)
	v_dot4c_i32_i8_e32 v56, v76, v0
	v_dot4c_i32_i8_e32 v63, v76, v1
	;; [unrolled: 1-line block ×16, first 2 shown]
	ds_read_b128 v[76:79], v58 offset:15360
	s_waitcnt lgkmcnt(1)
	v_dot4c_i32_i8_e32 v11, v4, v80
	v_dot4c_i32_i8_e32 v12, v4, v81
	;; [unrolled: 1-line block ×16, first 2 shown]
	ds_read_b128 v[80:83], v62 offset:31744
	v_dot4c_i32_i8_e32 v25, v4, v0
	v_dot4c_i32_i8_e32 v32, v4, v1
	;; [unrolled: 1-line block ×16, first 2 shown]
	ds_read_b128 v[0:3], v62 offset:32000
	ds_read_b128 v[4:7], v58 offset:15616
	s_waitcnt lgkmcnt(2)
	v_dot4c_i32_i8_e32 v40, v76, v80
	v_dot4c_i32_i8_e32 v47, v76, v81
	;; [unrolled: 1-line block ×16, first 2 shown]
	s_waitcnt lgkmcnt(1)
	v_dot4c_i32_i8_e32 v56, v76, v0
	v_dot4c_i32_i8_e32 v63, v76, v1
	;; [unrolled: 1-line block ×16, first 2 shown]
	ds_read_b128 v[76:79], v58 offset:15872
	s_waitcnt lgkmcnt(1)
	v_dot4c_i32_i8_e32 v11, v4, v80
	v_dot4c_i32_i8_e32 v12, v4, v81
	v_dot4c_i32_i8_e32 v13, v4, v82
	v_dot4c_i32_i8_e32 v14, v4, v83
	v_dot4c_i32_i8_e32 v19, v5, v80
	v_dot4c_i32_i8_e32 v20, v5, v81
	v_dot4c_i32_i8_e32 v21, v5, v82
	v_dot4c_i32_i8_e32 v22, v5, v83
	v_dot4c_i32_i8_e32 v35, v6, v80
	v_dot4c_i32_i8_e32 v36, v6, v81
	v_dot4c_i32_i8_e32 v37, v6, v82
	v_dot4c_i32_i8_e32 v38, v6, v83
	v_dot4c_i32_i8_e32 v57, v7, v80
	v_dot4c_i32_i8_e32 v66, v7, v81
	v_dot4c_i32_i8_e32 v67, v7, v82
	v_dot4c_i32_i8_e32 v68, v7, v83
	ds_read_b128 v[80:83], v62 offset:32256
	v_dot4c_i32_i8_e32 v25, v4, v0
	v_dot4c_i32_i8_e32 v32, v4, v1
	;; [unrolled: 1-line block ×16, first 2 shown]
	ds_read_b128 v[0:3], v62 offset:32512
	ds_read_b128 v[4:7], v58 offset:16128
	s_waitcnt lgkmcnt(2)
	v_dot4c_i32_i8_e32 v47, v76, v81
	v_dot4c_i32_i8_e32 v48, v76, v82
	;; [unrolled: 1-line block ×4, first 2 shown]
	s_waitcnt lgkmcnt(1)
	v_dot4c_i32_i8_e32 v56, v76, v0
	v_dot4c_i32_i8_e32 v63, v76, v1
	;; [unrolled: 1-line block ×12, first 2 shown]
	s_waitcnt lgkmcnt(0)
	v_dot4c_i32_i8_e32 v25, v4, v0
	v_dot4c_i32_i8_e32 v32, v4, v1
	;; [unrolled: 1-line block ×12, first 2 shown]
	v_or_b32_e32 v0, s0, v9
	v_lshlrev_b32_e32 v1, 8, v47
	v_lshlrev_b32_e32 v2, 16, v48
	s_mov_b32 s0, 0x40c0c00
	v_dot4c_i32_i8_e32 v65, v76, v3
	v_dot4c_i32_i8_e32 v61, v77, v3
	;; [unrolled: 1-line block ×8, first 2 shown]
	v_mul_lo_u32 v0, v0, s3
	v_and_b32_e32 v1, 0xff00, v1
	v_and_b32_e32 v2, 0xff0000, v2
	v_perm_b32 v3, v46, v40, s0
	v_add3_u32 v0, s1, v8, v0
	v_or3_b32 v1, v3, v1, v2
	buffer_store_dword v1, v0, s[12:15], 0 offen
	v_lshlrev_b32_e32 v1, 8, v63
	v_lshlrev_b32_e32 v2, 16, v64
	v_and_b32_e32 v1, 0xff00, v1
	v_and_b32_e32 v2, 0xff0000, v2
	v_perm_b32 v3, v65, v56, s0
	v_or3_b32 v1, v3, v1, v2
	v_lshlrev_b32_e32 v2, 8, v59
	v_lshlrev_b32_e32 v3, 16, v60
	v_dot4c_i32_i8_e32 v11, v4, v80
	v_dot4c_i32_i8_e32 v12, v4, v81
	;; [unrolled: 1-line block ×4, first 2 shown]
	buffer_store_dword v1, v0, s[12:15], 0 offen offset:64
	v_add_u32_e32 v0, s3, v0
	v_and_b32_e32 v2, 0xff00, v2
	v_and_b32_e32 v3, 0xff0000, v3
	v_perm_b32 v4, v61, v55, s0
	v_dot4c_i32_i8_e32 v26, v77, v81
	v_dot4c_i32_i8_e32 v27, v77, v82
	v_add_u32_e32 v1, 64, v0
	v_or3_b32 v2, v4, v2, v3
	v_dot4c_i32_i8_e32 v23, v77, v80
	v_dot4c_i32_i8_e32 v28, v77, v83
	buffer_store_dword v2, v1, s[12:15], 0 offen
	v_lshlrev_b32_e32 v1, 8, v26
	v_lshlrev_b32_e32 v2, 16, v27
	v_and_b32_e32 v1, 0xff00, v1
	v_and_b32_e32 v2, 0xff0000, v2
	v_perm_b32 v3, v28, v23, s0
	v_dot4c_i32_i8_e32 v29, v78, v81
	v_dot4c_i32_i8_e32 v30, v78, v82
	v_or3_b32 v1, v3, v1, v2
	v_dot4c_i32_i8_e32 v24, v78, v80
	v_dot4c_i32_i8_e32 v31, v78, v83
	buffer_store_dword v1, v0, s[12:15], 0 offen
	v_lshlrev_b32_e32 v1, 8, v29
	v_lshlrev_b32_e32 v2, 16, v30
	v_and_b32_e32 v1, 0xff00, v1
	v_and_b32_e32 v2, 0xff0000, v2
	v_perm_b32 v3, v31, v24, s0
	v_or3_b32 v1, v3, v1, v2
	v_lshlrev_b32_e32 v2, 8, v49
	v_lshlrev_b32_e32 v3, 16, v50
	v_and_b32_e32 v2, 0xff00, v2
	v_and_b32_e32 v3, 0xff0000, v3
	v_perm_b32 v4, v51, v41, s0
	v_add_u32_e32 v0, s3, v0
	v_or3_b32 v2, v4, v2, v3
	v_lshlrev_b32_e32 v3, 8, v52
	v_lshlrev_b32_e32 v4, 16, v53
	v_dot4c_i32_i8_e32 v19, v5, v80
	v_dot4c_i32_i8_e32 v20, v5, v81
	;; [unrolled: 1-line block ×4, first 2 shown]
	buffer_store_dword v1, v0, s[12:15], 0 offen
	v_add_u32_e32 v1, 64, v0
	v_and_b32_e32 v3, 0xff00, v3
	v_and_b32_e32 v4, 0xff0000, v4
	v_perm_b32 v5, v54, v42, s0
	v_dot4c_i32_i8_e32 v16, v79, v81
	v_dot4c_i32_i8_e32 v17, v79, v82
	buffer_store_dword v2, v0, s[12:15], 0 offen offset:64
	v_add_u32_e32 v2, s3, v1
	v_or3_b32 v3, v5, v3, v4
	v_dot4c_i32_i8_e32 v15, v79, v80
	v_dot4c_i32_i8_e32 v18, v79, v83
	buffer_store_dword v3, v2, s[12:15], 0 offen
	v_lshlrev_b32_e32 v2, 8, v16
	v_lshlrev_b32_e32 v3, 16, v17
	v_and_b32_e32 v2, 0xff00, v2
	v_and_b32_e32 v3, 0xff0000, v3
	v_perm_b32 v4, v18, v15, s0
	v_dot4c_i32_i8_e32 v66, v7, v81
	v_dot4c_i32_i8_e32 v67, v7, v82
	v_add_u32_e32 v0, s3, v0
	v_or3_b32 v2, v4, v2, v3
	v_dot4c_i32_i8_e32 v57, v7, v80
	v_dot4c_i32_i8_e32 v68, v7, v83
	buffer_store_dword v2, v0, s[12:15], 0 offen
	v_lshlrev_b32_e32 v2, 8, v66
	v_lshlrev_b32_e32 v3, 16, v67
	s_lshl_b32 s1, s3, 6
	v_and_b32_e32 v2, 0xff00, v2
	v_and_b32_e32 v3, 0xff0000, v3
	v_perm_b32 v4, v68, v57, s0
	v_add_u32_e32 v0, s1, v0
	v_or3_b32 v2, v4, v2, v3
	buffer_store_dword v2, v0, s[12:15], 0 offen
	v_lshlrev_b32_e32 v2, 8, v74
	v_lshlrev_b32_e32 v3, 16, v75
	v_and_b32_e32 v2, 0xff00, v2
	v_and_b32_e32 v3, 0xff0000, v3
	v_perm_b32 v4, v10, v73, s0
	v_or3_b32 v2, v4, v2, v3
	buffer_store_dword v2, v0, s[12:15], 0 offen offset:64
	v_add_u32_e32 v0, s1, v1
	v_lshlrev_b32_e32 v1, 8, v70
	v_lshlrev_b32_e32 v2, 16, v71
	v_and_b32_e32 v1, 0xff00, v1
	v_and_b32_e32 v2, 0xff0000, v2
	v_perm_b32 v3, v72, v69, s0
	v_dot4c_i32_i8_e32 v36, v6, v81
	v_dot4c_i32_i8_e32 v37, v6, v82
	v_or3_b32 v1, v3, v1, v2
	v_dot4c_i32_i8_e32 v35, v6, v80
	v_dot4c_i32_i8_e32 v38, v6, v83
	buffer_store_dword v1, v0, s[12:15], 0 offen
	v_lshlrev_b32_e32 v1, 8, v36
	v_lshlrev_b32_e32 v2, 16, v37
	v_and_b32_e32 v1, 0xff00, v1
	v_and_b32_e32 v2, 0xff0000, v2
	v_perm_b32 v3, v38, v35, s0
	v_subrev_u32_e32 v0, 64, v0
	v_or3_b32 v1, v3, v1, v2
	buffer_store_dword v1, v0, s[12:15], 0 offen
	v_lshlrev_b32_e32 v1, 8, v20
	v_lshlrev_b32_e32 v2, 16, v21
	v_and_b32_e32 v1, 0xff00, v1
	v_and_b32_e32 v2, 0xff0000, v2
	v_perm_b32 v3, v22, v19, s0
	v_subrev_u32_e32 v0, s3, v0
	v_or3_b32 v1, v3, v1, v2
	buffer_store_dword v1, v0, s[12:15], 0 offen
	v_lshlrev_b32_e32 v1, 8, v43
	v_lshlrev_b32_e32 v2, 16, v44
	v_and_b32_e32 v1, 0xff00, v1
	v_and_b32_e32 v2, 0xff0000, v2
	v_perm_b32 v3, v45, v39, s0
	v_or3_b32 v1, v3, v1, v2
	v_lshlrev_b32_e32 v2, 8, v32
	v_lshlrev_b32_e32 v3, 16, v33
	buffer_store_dword v1, v0, s[12:15], 0 offen offset:64
	v_subrev_u32_e32 v0, s3, v0
	v_and_b32_e32 v2, 0xff00, v2
	v_and_b32_e32 v3, 0xff0000, v3
	v_perm_b32 v4, v34, v25, s0
	v_add_u32_e32 v1, 64, v0
	v_or3_b32 v2, v4, v2, v3
	buffer_store_dword v2, v1, s[12:15], 0 offen
	v_lshlrev_b32_e32 v1, 8, v12
	v_lshlrev_b32_e32 v2, 16, v13
	v_and_b32_e32 v1, 0xff00, v1
	v_and_b32_e32 v2, 0xff0000, v2
	v_perm_b32 v3, v14, v11, s0
	v_or3_b32 v1, v3, v1, v2
	buffer_store_dword v1, v0, s[12:15], 0 offen
	s_endpgm
	.section	.rodata,"a",@progbits
	.p2align	6, 0x0
	.amdhsa_kernel _ZN2ck19kernel_gemm_dl_v1r3INS_28GridwiseGemmDl_km_kn_mn_v1r3ILi256EaiaLNS_25InMemoryDataOperationEnumE0ENS_16TensorDescriptorINS_5TupleIJNS_5EmbedINS4_IJiiEEENS4_IJNS_17integral_constantIiLi1EEEiEEELb0EEENS_7UnMergeINS4_IJiNS7_IiLi4EEEEEELb0EEENS_11PassThroughIiEEEEENS4_IJNS_8SequenceIJLi0EEEENSI_IJLi2EEEENSI_IJLi1EEEEEEENS4_IJNSI_IJLi1ELi2EEEENSI_IJLi3ELi4EEEENSI_IJLi5EEEEEEENSI_IJLi3ELi5ELi4EEEElEENS3_INS4_IJNS5_IS6_NS4_IJiS8_EEELb0EEESE_SG_EEENS4_IJSJ_SL_SK_EEESQ_SR_lEENS3_INS4_IJSU_SG_SG_EEESW_NS4_IJSN_NSI_IJLi3EEEENSI_IJLi4EEEEEEESO_lEELi128ELi128ELi16ELi4ELi4ELi4ELi1ENSI_IJLi8ELi2EEEES13_NSI_IJLi2ELi1ELi4ELi4EEEENSI_IJLi8ELi1ELi32ELi1EEEENSI_IJLi0ELi3ELi1ELi2EEEES16_NSI_IJLi1ELi1ELi4ELi1EEEES16_NSI_IJLi1ELi1ELi4ELi4EEEES14_S15_S16_S16_S17_S16_S18_NSI_IJLi0ELi1ELi2ELi3ELi4ELi5EEEELi5ELi4EEEaaNS3_INS4_IJSA_SE_SG_SG_NSB_INS4_IJiNS7_IiLi128EEEEEELb0EEENSF_ISC_EEEEENS4_IJSJ_SK_SL_SZ_SP_S10_EEENS4_IJSN_SO_SP_NSI_IJLi6EEEENSI_IJLi7ELi8EEEENSI_IJLi9EEEEEEENSI_IJLi6ELi7ELi8ELi9EEEElEENS3_INS4_IJSU_SE_SG_SG_S1D_S1E_EEENS4_IJSJ_SL_SK_SZ_SP_S10_EEES1K_S1L_lEENS3_INS4_IJSU_SG_SG_NSB_INS4_IJiNS7_IiLi2EEENS7_IiLi64EEEEEELb0EEES1T_EEENS4_IJSJ_SL_SK_SZ_S10_EEENS4_IJSN_SZ_S10_NSI_IJLi5ELi6ELi7EEEENSI_IJLi8ELi9ELi10EEEEEEENSI_IJLi5ELi6ELi7ELi8ELi9ELi10EEEElEENS_31BlockToCTileMap_M00_N00_M01_N01ILi128ELi128ES12_Lb0EEELb0ELb1EEEvPKT0_S25_PT1_T2_T3_T4_T5_
		.amdhsa_group_segment_fixed_size 32768
		.amdhsa_private_segment_fixed_size 0
		.amdhsa_kernarg_size 328
		.amdhsa_user_sgpr_count 2
		.amdhsa_user_sgpr_dispatch_ptr 0
		.amdhsa_user_sgpr_queue_ptr 0
		.amdhsa_user_sgpr_kernarg_segment_ptr 1
		.amdhsa_user_sgpr_dispatch_id 0
		.amdhsa_user_sgpr_kernarg_preload_length 0
		.amdhsa_user_sgpr_kernarg_preload_offset 0
		.amdhsa_user_sgpr_private_segment_size 0
		.amdhsa_uses_dynamic_stack 0
		.amdhsa_enable_private_segment 0
		.amdhsa_system_sgpr_workgroup_id_x 1
		.amdhsa_system_sgpr_workgroup_id_y 0
		.amdhsa_system_sgpr_workgroup_id_z 0
		.amdhsa_system_sgpr_workgroup_info 0
		.amdhsa_system_vgpr_workitem_id 0
		.amdhsa_next_free_vgpr 98
		.amdhsa_next_free_sgpr 96
		.amdhsa_accum_offset 100
		.amdhsa_reserve_vcc 0
		.amdhsa_float_round_mode_32 0
		.amdhsa_float_round_mode_16_64 0
		.amdhsa_float_denorm_mode_32 3
		.amdhsa_float_denorm_mode_16_64 3
		.amdhsa_dx10_clamp 1
		.amdhsa_ieee_mode 1
		.amdhsa_fp16_overflow 0
		.amdhsa_tg_split 0
		.amdhsa_exception_fp_ieee_invalid_op 0
		.amdhsa_exception_fp_denorm_src 0
		.amdhsa_exception_fp_ieee_div_zero 0
		.amdhsa_exception_fp_ieee_overflow 0
		.amdhsa_exception_fp_ieee_underflow 0
		.amdhsa_exception_fp_ieee_inexact 0
		.amdhsa_exception_int_div_zero 0
	.end_amdhsa_kernel
	.section	.text._ZN2ck19kernel_gemm_dl_v1r3INS_28GridwiseGemmDl_km_kn_mn_v1r3ILi256EaiaLNS_25InMemoryDataOperationEnumE0ENS_16TensorDescriptorINS_5TupleIJNS_5EmbedINS4_IJiiEEENS4_IJNS_17integral_constantIiLi1EEEiEEELb0EEENS_7UnMergeINS4_IJiNS7_IiLi4EEEEEELb0EEENS_11PassThroughIiEEEEENS4_IJNS_8SequenceIJLi0EEEENSI_IJLi2EEEENSI_IJLi1EEEEEEENS4_IJNSI_IJLi1ELi2EEEENSI_IJLi3ELi4EEEENSI_IJLi5EEEEEEENSI_IJLi3ELi5ELi4EEEElEENS3_INS4_IJNS5_IS6_NS4_IJiS8_EEELb0EEESE_SG_EEENS4_IJSJ_SL_SK_EEESQ_SR_lEENS3_INS4_IJSU_SG_SG_EEESW_NS4_IJSN_NSI_IJLi3EEEENSI_IJLi4EEEEEEESO_lEELi128ELi128ELi16ELi4ELi4ELi4ELi1ENSI_IJLi8ELi2EEEES13_NSI_IJLi2ELi1ELi4ELi4EEEENSI_IJLi8ELi1ELi32ELi1EEEENSI_IJLi0ELi3ELi1ELi2EEEES16_NSI_IJLi1ELi1ELi4ELi1EEEES16_NSI_IJLi1ELi1ELi4ELi4EEEES14_S15_S16_S16_S17_S16_S18_NSI_IJLi0ELi1ELi2ELi3ELi4ELi5EEEELi5ELi4EEEaaNS3_INS4_IJSA_SE_SG_SG_NSB_INS4_IJiNS7_IiLi128EEEEEELb0EEENSF_ISC_EEEEENS4_IJSJ_SK_SL_SZ_SP_S10_EEENS4_IJSN_SO_SP_NSI_IJLi6EEEENSI_IJLi7ELi8EEEENSI_IJLi9EEEEEEENSI_IJLi6ELi7ELi8ELi9EEEElEENS3_INS4_IJSU_SE_SG_SG_S1D_S1E_EEENS4_IJSJ_SL_SK_SZ_SP_S10_EEES1K_S1L_lEENS3_INS4_IJSU_SG_SG_NSB_INS4_IJiNS7_IiLi2EEENS7_IiLi64EEEEEELb0EEES1T_EEENS4_IJSJ_SL_SK_SZ_S10_EEENS4_IJSN_SZ_S10_NSI_IJLi5ELi6ELi7EEEENSI_IJLi8ELi9ELi10EEEEEEENSI_IJLi5ELi6ELi7ELi8ELi9ELi10EEEElEENS_31BlockToCTileMap_M00_N00_M01_N01ILi128ELi128ES12_Lb0EEELb0ELb1EEEvPKT0_S25_PT1_T2_T3_T4_T5_,"axG",@progbits,_ZN2ck19kernel_gemm_dl_v1r3INS_28GridwiseGemmDl_km_kn_mn_v1r3ILi256EaiaLNS_25InMemoryDataOperationEnumE0ENS_16TensorDescriptorINS_5TupleIJNS_5EmbedINS4_IJiiEEENS4_IJNS_17integral_constantIiLi1EEEiEEELb0EEENS_7UnMergeINS4_IJiNS7_IiLi4EEEEEELb0EEENS_11PassThroughIiEEEEENS4_IJNS_8SequenceIJLi0EEEENSI_IJLi2EEEENSI_IJLi1EEEEEEENS4_IJNSI_IJLi1ELi2EEEENSI_IJLi3ELi4EEEENSI_IJLi5EEEEEEENSI_IJLi3ELi5ELi4EEEElEENS3_INS4_IJNS5_IS6_NS4_IJiS8_EEELb0EEESE_SG_EEENS4_IJSJ_SL_SK_EEESQ_SR_lEENS3_INS4_IJSU_SG_SG_EEESW_NS4_IJSN_NSI_IJLi3EEEENSI_IJLi4EEEEEEESO_lEELi128ELi128ELi16ELi4ELi4ELi4ELi1ENSI_IJLi8ELi2EEEES13_NSI_IJLi2ELi1ELi4ELi4EEEENSI_IJLi8ELi1ELi32ELi1EEEENSI_IJLi0ELi3ELi1ELi2EEEES16_NSI_IJLi1ELi1ELi4ELi1EEEES16_NSI_IJLi1ELi1ELi4ELi4EEEES14_S15_S16_S16_S17_S16_S18_NSI_IJLi0ELi1ELi2ELi3ELi4ELi5EEEELi5ELi4EEEaaNS3_INS4_IJSA_SE_SG_SG_NSB_INS4_IJiNS7_IiLi128EEEEEELb0EEENSF_ISC_EEEEENS4_IJSJ_SK_SL_SZ_SP_S10_EEENS4_IJSN_SO_SP_NSI_IJLi6EEEENSI_IJLi7ELi8EEEENSI_IJLi9EEEEEEENSI_IJLi6ELi7ELi8ELi9EEEElEENS3_INS4_IJSU_SE_SG_SG_S1D_S1E_EEENS4_IJSJ_SL_SK_SZ_SP_S10_EEES1K_S1L_lEENS3_INS4_IJSU_SG_SG_NSB_INS4_IJiNS7_IiLi2EEENS7_IiLi64EEEEEELb0EEES1T_EEENS4_IJSJ_SL_SK_SZ_S10_EEENS4_IJSN_SZ_S10_NSI_IJLi5ELi6ELi7EEEENSI_IJLi8ELi9ELi10EEEEEEENSI_IJLi5ELi6ELi7ELi8ELi9ELi10EEEElEENS_31BlockToCTileMap_M00_N00_M01_N01ILi128ELi128ES12_Lb0EEELb0ELb1EEEvPKT0_S25_PT1_T2_T3_T4_T5_,comdat
.Lfunc_end3:
	.size	_ZN2ck19kernel_gemm_dl_v1r3INS_28GridwiseGemmDl_km_kn_mn_v1r3ILi256EaiaLNS_25InMemoryDataOperationEnumE0ENS_16TensorDescriptorINS_5TupleIJNS_5EmbedINS4_IJiiEEENS4_IJNS_17integral_constantIiLi1EEEiEEELb0EEENS_7UnMergeINS4_IJiNS7_IiLi4EEEEEELb0EEENS_11PassThroughIiEEEEENS4_IJNS_8SequenceIJLi0EEEENSI_IJLi2EEEENSI_IJLi1EEEEEEENS4_IJNSI_IJLi1ELi2EEEENSI_IJLi3ELi4EEEENSI_IJLi5EEEEEEENSI_IJLi3ELi5ELi4EEEElEENS3_INS4_IJNS5_IS6_NS4_IJiS8_EEELb0EEESE_SG_EEENS4_IJSJ_SL_SK_EEESQ_SR_lEENS3_INS4_IJSU_SG_SG_EEESW_NS4_IJSN_NSI_IJLi3EEEENSI_IJLi4EEEEEEESO_lEELi128ELi128ELi16ELi4ELi4ELi4ELi1ENSI_IJLi8ELi2EEEES13_NSI_IJLi2ELi1ELi4ELi4EEEENSI_IJLi8ELi1ELi32ELi1EEEENSI_IJLi0ELi3ELi1ELi2EEEES16_NSI_IJLi1ELi1ELi4ELi1EEEES16_NSI_IJLi1ELi1ELi4ELi4EEEES14_S15_S16_S16_S17_S16_S18_NSI_IJLi0ELi1ELi2ELi3ELi4ELi5EEEELi5ELi4EEEaaNS3_INS4_IJSA_SE_SG_SG_NSB_INS4_IJiNS7_IiLi128EEEEEELb0EEENSF_ISC_EEEEENS4_IJSJ_SK_SL_SZ_SP_S10_EEENS4_IJSN_SO_SP_NSI_IJLi6EEEENSI_IJLi7ELi8EEEENSI_IJLi9EEEEEEENSI_IJLi6ELi7ELi8ELi9EEEElEENS3_INS4_IJSU_SE_SG_SG_S1D_S1E_EEENS4_IJSJ_SL_SK_SZ_SP_S10_EEES1K_S1L_lEENS3_INS4_IJSU_SG_SG_NSB_INS4_IJiNS7_IiLi2EEENS7_IiLi64EEEEEELb0EEES1T_EEENS4_IJSJ_SL_SK_SZ_S10_EEENS4_IJSN_SZ_S10_NSI_IJLi5ELi6ELi7EEEENSI_IJLi8ELi9ELi10EEEEEEENSI_IJLi5ELi6ELi7ELi8ELi9ELi10EEEElEENS_31BlockToCTileMap_M00_N00_M01_N01ILi128ELi128ES12_Lb0EEELb0ELb1EEEvPKT0_S25_PT1_T2_T3_T4_T5_, .Lfunc_end3-_ZN2ck19kernel_gemm_dl_v1r3INS_28GridwiseGemmDl_km_kn_mn_v1r3ILi256EaiaLNS_25InMemoryDataOperationEnumE0ENS_16TensorDescriptorINS_5TupleIJNS_5EmbedINS4_IJiiEEENS4_IJNS_17integral_constantIiLi1EEEiEEELb0EEENS_7UnMergeINS4_IJiNS7_IiLi4EEEEEELb0EEENS_11PassThroughIiEEEEENS4_IJNS_8SequenceIJLi0EEEENSI_IJLi2EEEENSI_IJLi1EEEEEEENS4_IJNSI_IJLi1ELi2EEEENSI_IJLi3ELi4EEEENSI_IJLi5EEEEEEENSI_IJLi3ELi5ELi4EEEElEENS3_INS4_IJNS5_IS6_NS4_IJiS8_EEELb0EEESE_SG_EEENS4_IJSJ_SL_SK_EEESQ_SR_lEENS3_INS4_IJSU_SG_SG_EEESW_NS4_IJSN_NSI_IJLi3EEEENSI_IJLi4EEEEEEESO_lEELi128ELi128ELi16ELi4ELi4ELi4ELi1ENSI_IJLi8ELi2EEEES13_NSI_IJLi2ELi1ELi4ELi4EEEENSI_IJLi8ELi1ELi32ELi1EEEENSI_IJLi0ELi3ELi1ELi2EEEES16_NSI_IJLi1ELi1ELi4ELi1EEEES16_NSI_IJLi1ELi1ELi4ELi4EEEES14_S15_S16_S16_S17_S16_S18_NSI_IJLi0ELi1ELi2ELi3ELi4ELi5EEEELi5ELi4EEEaaNS3_INS4_IJSA_SE_SG_SG_NSB_INS4_IJiNS7_IiLi128EEEEEELb0EEENSF_ISC_EEEEENS4_IJSJ_SK_SL_SZ_SP_S10_EEENS4_IJSN_SO_SP_NSI_IJLi6EEEENSI_IJLi7ELi8EEEENSI_IJLi9EEEEEEENSI_IJLi6ELi7ELi8ELi9EEEElEENS3_INS4_IJSU_SE_SG_SG_S1D_S1E_EEENS4_IJSJ_SL_SK_SZ_SP_S10_EEES1K_S1L_lEENS3_INS4_IJSU_SG_SG_NSB_INS4_IJiNS7_IiLi2EEENS7_IiLi64EEEEEELb0EEES1T_EEENS4_IJSJ_SL_SK_SZ_S10_EEENS4_IJSN_SZ_S10_NSI_IJLi5ELi6ELi7EEEENSI_IJLi8ELi9ELi10EEEEEEENSI_IJLi5ELi6ELi7ELi8ELi9ELi10EEEElEENS_31BlockToCTileMap_M00_N00_M01_N01ILi128ELi128ES12_Lb0EEELb0ELb1EEEvPKT0_S25_PT1_T2_T3_T4_T5_
                                        ; -- End function
	.set _ZN2ck19kernel_gemm_dl_v1r3INS_28GridwiseGemmDl_km_kn_mn_v1r3ILi256EaiaLNS_25InMemoryDataOperationEnumE0ENS_16TensorDescriptorINS_5TupleIJNS_5EmbedINS4_IJiiEEENS4_IJNS_17integral_constantIiLi1EEEiEEELb0EEENS_7UnMergeINS4_IJiNS7_IiLi4EEEEEELb0EEENS_11PassThroughIiEEEEENS4_IJNS_8SequenceIJLi0EEEENSI_IJLi2EEEENSI_IJLi1EEEEEEENS4_IJNSI_IJLi1ELi2EEEENSI_IJLi3ELi4EEEENSI_IJLi5EEEEEEENSI_IJLi3ELi5ELi4EEEElEENS3_INS4_IJNS5_IS6_NS4_IJiS8_EEELb0EEESE_SG_EEENS4_IJSJ_SL_SK_EEESQ_SR_lEENS3_INS4_IJSU_SG_SG_EEESW_NS4_IJSN_NSI_IJLi3EEEENSI_IJLi4EEEEEEESO_lEELi128ELi128ELi16ELi4ELi4ELi4ELi1ENSI_IJLi8ELi2EEEES13_NSI_IJLi2ELi1ELi4ELi4EEEENSI_IJLi8ELi1ELi32ELi1EEEENSI_IJLi0ELi3ELi1ELi2EEEES16_NSI_IJLi1ELi1ELi4ELi1EEEES16_NSI_IJLi1ELi1ELi4ELi4EEEES14_S15_S16_S16_S17_S16_S18_NSI_IJLi0ELi1ELi2ELi3ELi4ELi5EEEELi5ELi4EEEaaNS3_INS4_IJSA_SE_SG_SG_NSB_INS4_IJiNS7_IiLi128EEEEEELb0EEENSF_ISC_EEEEENS4_IJSJ_SK_SL_SZ_SP_S10_EEENS4_IJSN_SO_SP_NSI_IJLi6EEEENSI_IJLi7ELi8EEEENSI_IJLi9EEEEEEENSI_IJLi6ELi7ELi8ELi9EEEElEENS3_INS4_IJSU_SE_SG_SG_S1D_S1E_EEENS4_IJSJ_SL_SK_SZ_SP_S10_EEES1K_S1L_lEENS3_INS4_IJSU_SG_SG_NSB_INS4_IJiNS7_IiLi2EEENS7_IiLi64EEEEEELb0EEES1T_EEENS4_IJSJ_SL_SK_SZ_S10_EEENS4_IJSN_SZ_S10_NSI_IJLi5ELi6ELi7EEEENSI_IJLi8ELi9ELi10EEEEEEENSI_IJLi5ELi6ELi7ELi8ELi9ELi10EEEElEENS_31BlockToCTileMap_M00_N00_M01_N01ILi128ELi128ES12_Lb0EEELb0ELb1EEEvPKT0_S25_PT1_T2_T3_T4_T5_.num_vgpr, 98
	.set _ZN2ck19kernel_gemm_dl_v1r3INS_28GridwiseGemmDl_km_kn_mn_v1r3ILi256EaiaLNS_25InMemoryDataOperationEnumE0ENS_16TensorDescriptorINS_5TupleIJNS_5EmbedINS4_IJiiEEENS4_IJNS_17integral_constantIiLi1EEEiEEELb0EEENS_7UnMergeINS4_IJiNS7_IiLi4EEEEEELb0EEENS_11PassThroughIiEEEEENS4_IJNS_8SequenceIJLi0EEEENSI_IJLi2EEEENSI_IJLi1EEEEEEENS4_IJNSI_IJLi1ELi2EEEENSI_IJLi3ELi4EEEENSI_IJLi5EEEEEEENSI_IJLi3ELi5ELi4EEEElEENS3_INS4_IJNS5_IS6_NS4_IJiS8_EEELb0EEESE_SG_EEENS4_IJSJ_SL_SK_EEESQ_SR_lEENS3_INS4_IJSU_SG_SG_EEESW_NS4_IJSN_NSI_IJLi3EEEENSI_IJLi4EEEEEEESO_lEELi128ELi128ELi16ELi4ELi4ELi4ELi1ENSI_IJLi8ELi2EEEES13_NSI_IJLi2ELi1ELi4ELi4EEEENSI_IJLi8ELi1ELi32ELi1EEEENSI_IJLi0ELi3ELi1ELi2EEEES16_NSI_IJLi1ELi1ELi4ELi1EEEES16_NSI_IJLi1ELi1ELi4ELi4EEEES14_S15_S16_S16_S17_S16_S18_NSI_IJLi0ELi1ELi2ELi3ELi4ELi5EEEELi5ELi4EEEaaNS3_INS4_IJSA_SE_SG_SG_NSB_INS4_IJiNS7_IiLi128EEEEEELb0EEENSF_ISC_EEEEENS4_IJSJ_SK_SL_SZ_SP_S10_EEENS4_IJSN_SO_SP_NSI_IJLi6EEEENSI_IJLi7ELi8EEEENSI_IJLi9EEEEEEENSI_IJLi6ELi7ELi8ELi9EEEElEENS3_INS4_IJSU_SE_SG_SG_S1D_S1E_EEENS4_IJSJ_SL_SK_SZ_SP_S10_EEES1K_S1L_lEENS3_INS4_IJSU_SG_SG_NSB_INS4_IJiNS7_IiLi2EEENS7_IiLi64EEEEEELb0EEES1T_EEENS4_IJSJ_SL_SK_SZ_S10_EEENS4_IJSN_SZ_S10_NSI_IJLi5ELi6ELi7EEEENSI_IJLi8ELi9ELi10EEEEEEENSI_IJLi5ELi6ELi7ELi8ELi9ELi10EEEElEENS_31BlockToCTileMap_M00_N00_M01_N01ILi128ELi128ES12_Lb0EEELb0ELb1EEEvPKT0_S25_PT1_T2_T3_T4_T5_.num_agpr, 0
	.set _ZN2ck19kernel_gemm_dl_v1r3INS_28GridwiseGemmDl_km_kn_mn_v1r3ILi256EaiaLNS_25InMemoryDataOperationEnumE0ENS_16TensorDescriptorINS_5TupleIJNS_5EmbedINS4_IJiiEEENS4_IJNS_17integral_constantIiLi1EEEiEEELb0EEENS_7UnMergeINS4_IJiNS7_IiLi4EEEEEELb0EEENS_11PassThroughIiEEEEENS4_IJNS_8SequenceIJLi0EEEENSI_IJLi2EEEENSI_IJLi1EEEEEEENS4_IJNSI_IJLi1ELi2EEEENSI_IJLi3ELi4EEEENSI_IJLi5EEEEEEENSI_IJLi3ELi5ELi4EEEElEENS3_INS4_IJNS5_IS6_NS4_IJiS8_EEELb0EEESE_SG_EEENS4_IJSJ_SL_SK_EEESQ_SR_lEENS3_INS4_IJSU_SG_SG_EEESW_NS4_IJSN_NSI_IJLi3EEEENSI_IJLi4EEEEEEESO_lEELi128ELi128ELi16ELi4ELi4ELi4ELi1ENSI_IJLi8ELi2EEEES13_NSI_IJLi2ELi1ELi4ELi4EEEENSI_IJLi8ELi1ELi32ELi1EEEENSI_IJLi0ELi3ELi1ELi2EEEES16_NSI_IJLi1ELi1ELi4ELi1EEEES16_NSI_IJLi1ELi1ELi4ELi4EEEES14_S15_S16_S16_S17_S16_S18_NSI_IJLi0ELi1ELi2ELi3ELi4ELi5EEEELi5ELi4EEEaaNS3_INS4_IJSA_SE_SG_SG_NSB_INS4_IJiNS7_IiLi128EEEEEELb0EEENSF_ISC_EEEEENS4_IJSJ_SK_SL_SZ_SP_S10_EEENS4_IJSN_SO_SP_NSI_IJLi6EEEENSI_IJLi7ELi8EEEENSI_IJLi9EEEEEEENSI_IJLi6ELi7ELi8ELi9EEEElEENS3_INS4_IJSU_SE_SG_SG_S1D_S1E_EEENS4_IJSJ_SL_SK_SZ_SP_S10_EEES1K_S1L_lEENS3_INS4_IJSU_SG_SG_NSB_INS4_IJiNS7_IiLi2EEENS7_IiLi64EEEEEELb0EEES1T_EEENS4_IJSJ_SL_SK_SZ_S10_EEENS4_IJSN_SZ_S10_NSI_IJLi5ELi6ELi7EEEENSI_IJLi8ELi9ELi10EEEEEEENSI_IJLi5ELi6ELi7ELi8ELi9ELi10EEEElEENS_31BlockToCTileMap_M00_N00_M01_N01ILi128ELi128ES12_Lb0EEELb0ELb1EEEvPKT0_S25_PT1_T2_T3_T4_T5_.numbered_sgpr, 40
	.set _ZN2ck19kernel_gemm_dl_v1r3INS_28GridwiseGemmDl_km_kn_mn_v1r3ILi256EaiaLNS_25InMemoryDataOperationEnumE0ENS_16TensorDescriptorINS_5TupleIJNS_5EmbedINS4_IJiiEEENS4_IJNS_17integral_constantIiLi1EEEiEEELb0EEENS_7UnMergeINS4_IJiNS7_IiLi4EEEEEELb0EEENS_11PassThroughIiEEEEENS4_IJNS_8SequenceIJLi0EEEENSI_IJLi2EEEENSI_IJLi1EEEEEEENS4_IJNSI_IJLi1ELi2EEEENSI_IJLi3ELi4EEEENSI_IJLi5EEEEEEENSI_IJLi3ELi5ELi4EEEElEENS3_INS4_IJNS5_IS6_NS4_IJiS8_EEELb0EEESE_SG_EEENS4_IJSJ_SL_SK_EEESQ_SR_lEENS3_INS4_IJSU_SG_SG_EEESW_NS4_IJSN_NSI_IJLi3EEEENSI_IJLi4EEEEEEESO_lEELi128ELi128ELi16ELi4ELi4ELi4ELi1ENSI_IJLi8ELi2EEEES13_NSI_IJLi2ELi1ELi4ELi4EEEENSI_IJLi8ELi1ELi32ELi1EEEENSI_IJLi0ELi3ELi1ELi2EEEES16_NSI_IJLi1ELi1ELi4ELi1EEEES16_NSI_IJLi1ELi1ELi4ELi4EEEES14_S15_S16_S16_S17_S16_S18_NSI_IJLi0ELi1ELi2ELi3ELi4ELi5EEEELi5ELi4EEEaaNS3_INS4_IJSA_SE_SG_SG_NSB_INS4_IJiNS7_IiLi128EEEEEELb0EEENSF_ISC_EEEEENS4_IJSJ_SK_SL_SZ_SP_S10_EEENS4_IJSN_SO_SP_NSI_IJLi6EEEENSI_IJLi7ELi8EEEENSI_IJLi9EEEEEEENSI_IJLi6ELi7ELi8ELi9EEEElEENS3_INS4_IJSU_SE_SG_SG_S1D_S1E_EEENS4_IJSJ_SL_SK_SZ_SP_S10_EEES1K_S1L_lEENS3_INS4_IJSU_SG_SG_NSB_INS4_IJiNS7_IiLi2EEENS7_IiLi64EEEEEELb0EEES1T_EEENS4_IJSJ_SL_SK_SZ_S10_EEENS4_IJSN_SZ_S10_NSI_IJLi5ELi6ELi7EEEENSI_IJLi8ELi9ELi10EEEEEEENSI_IJLi5ELi6ELi7ELi8ELi9ELi10EEEElEENS_31BlockToCTileMap_M00_N00_M01_N01ILi128ELi128ES12_Lb0EEELb0ELb1EEEvPKT0_S25_PT1_T2_T3_T4_T5_.num_named_barrier, 0
	.set _ZN2ck19kernel_gemm_dl_v1r3INS_28GridwiseGemmDl_km_kn_mn_v1r3ILi256EaiaLNS_25InMemoryDataOperationEnumE0ENS_16TensorDescriptorINS_5TupleIJNS_5EmbedINS4_IJiiEEENS4_IJNS_17integral_constantIiLi1EEEiEEELb0EEENS_7UnMergeINS4_IJiNS7_IiLi4EEEEEELb0EEENS_11PassThroughIiEEEEENS4_IJNS_8SequenceIJLi0EEEENSI_IJLi2EEEENSI_IJLi1EEEEEEENS4_IJNSI_IJLi1ELi2EEEENSI_IJLi3ELi4EEEENSI_IJLi5EEEEEEENSI_IJLi3ELi5ELi4EEEElEENS3_INS4_IJNS5_IS6_NS4_IJiS8_EEELb0EEESE_SG_EEENS4_IJSJ_SL_SK_EEESQ_SR_lEENS3_INS4_IJSU_SG_SG_EEESW_NS4_IJSN_NSI_IJLi3EEEENSI_IJLi4EEEEEEESO_lEELi128ELi128ELi16ELi4ELi4ELi4ELi1ENSI_IJLi8ELi2EEEES13_NSI_IJLi2ELi1ELi4ELi4EEEENSI_IJLi8ELi1ELi32ELi1EEEENSI_IJLi0ELi3ELi1ELi2EEEES16_NSI_IJLi1ELi1ELi4ELi1EEEES16_NSI_IJLi1ELi1ELi4ELi4EEEES14_S15_S16_S16_S17_S16_S18_NSI_IJLi0ELi1ELi2ELi3ELi4ELi5EEEELi5ELi4EEEaaNS3_INS4_IJSA_SE_SG_SG_NSB_INS4_IJiNS7_IiLi128EEEEEELb0EEENSF_ISC_EEEEENS4_IJSJ_SK_SL_SZ_SP_S10_EEENS4_IJSN_SO_SP_NSI_IJLi6EEEENSI_IJLi7ELi8EEEENSI_IJLi9EEEEEEENSI_IJLi6ELi7ELi8ELi9EEEElEENS3_INS4_IJSU_SE_SG_SG_S1D_S1E_EEENS4_IJSJ_SL_SK_SZ_SP_S10_EEES1K_S1L_lEENS3_INS4_IJSU_SG_SG_NSB_INS4_IJiNS7_IiLi2EEENS7_IiLi64EEEEEELb0EEES1T_EEENS4_IJSJ_SL_SK_SZ_S10_EEENS4_IJSN_SZ_S10_NSI_IJLi5ELi6ELi7EEEENSI_IJLi8ELi9ELi10EEEEEEENSI_IJLi5ELi6ELi7ELi8ELi9ELi10EEEElEENS_31BlockToCTileMap_M00_N00_M01_N01ILi128ELi128ES12_Lb0EEELb0ELb1EEEvPKT0_S25_PT1_T2_T3_T4_T5_.private_seg_size, 0
	.set _ZN2ck19kernel_gemm_dl_v1r3INS_28GridwiseGemmDl_km_kn_mn_v1r3ILi256EaiaLNS_25InMemoryDataOperationEnumE0ENS_16TensorDescriptorINS_5TupleIJNS_5EmbedINS4_IJiiEEENS4_IJNS_17integral_constantIiLi1EEEiEEELb0EEENS_7UnMergeINS4_IJiNS7_IiLi4EEEEEELb0EEENS_11PassThroughIiEEEEENS4_IJNS_8SequenceIJLi0EEEENSI_IJLi2EEEENSI_IJLi1EEEEEEENS4_IJNSI_IJLi1ELi2EEEENSI_IJLi3ELi4EEEENSI_IJLi5EEEEEEENSI_IJLi3ELi5ELi4EEEElEENS3_INS4_IJNS5_IS6_NS4_IJiS8_EEELb0EEESE_SG_EEENS4_IJSJ_SL_SK_EEESQ_SR_lEENS3_INS4_IJSU_SG_SG_EEESW_NS4_IJSN_NSI_IJLi3EEEENSI_IJLi4EEEEEEESO_lEELi128ELi128ELi16ELi4ELi4ELi4ELi1ENSI_IJLi8ELi2EEEES13_NSI_IJLi2ELi1ELi4ELi4EEEENSI_IJLi8ELi1ELi32ELi1EEEENSI_IJLi0ELi3ELi1ELi2EEEES16_NSI_IJLi1ELi1ELi4ELi1EEEES16_NSI_IJLi1ELi1ELi4ELi4EEEES14_S15_S16_S16_S17_S16_S18_NSI_IJLi0ELi1ELi2ELi3ELi4ELi5EEEELi5ELi4EEEaaNS3_INS4_IJSA_SE_SG_SG_NSB_INS4_IJiNS7_IiLi128EEEEEELb0EEENSF_ISC_EEEEENS4_IJSJ_SK_SL_SZ_SP_S10_EEENS4_IJSN_SO_SP_NSI_IJLi6EEEENSI_IJLi7ELi8EEEENSI_IJLi9EEEEEEENSI_IJLi6ELi7ELi8ELi9EEEElEENS3_INS4_IJSU_SE_SG_SG_S1D_S1E_EEENS4_IJSJ_SL_SK_SZ_SP_S10_EEES1K_S1L_lEENS3_INS4_IJSU_SG_SG_NSB_INS4_IJiNS7_IiLi2EEENS7_IiLi64EEEEEELb0EEES1T_EEENS4_IJSJ_SL_SK_SZ_S10_EEENS4_IJSN_SZ_S10_NSI_IJLi5ELi6ELi7EEEENSI_IJLi8ELi9ELi10EEEEEEENSI_IJLi5ELi6ELi7ELi8ELi9ELi10EEEElEENS_31BlockToCTileMap_M00_N00_M01_N01ILi128ELi128ES12_Lb0EEELb0ELb1EEEvPKT0_S25_PT1_T2_T3_T4_T5_.uses_vcc, 0
	.set _ZN2ck19kernel_gemm_dl_v1r3INS_28GridwiseGemmDl_km_kn_mn_v1r3ILi256EaiaLNS_25InMemoryDataOperationEnumE0ENS_16TensorDescriptorINS_5TupleIJNS_5EmbedINS4_IJiiEEENS4_IJNS_17integral_constantIiLi1EEEiEEELb0EEENS_7UnMergeINS4_IJiNS7_IiLi4EEEEEELb0EEENS_11PassThroughIiEEEEENS4_IJNS_8SequenceIJLi0EEEENSI_IJLi2EEEENSI_IJLi1EEEEEEENS4_IJNSI_IJLi1ELi2EEEENSI_IJLi3ELi4EEEENSI_IJLi5EEEEEEENSI_IJLi3ELi5ELi4EEEElEENS3_INS4_IJNS5_IS6_NS4_IJiS8_EEELb0EEESE_SG_EEENS4_IJSJ_SL_SK_EEESQ_SR_lEENS3_INS4_IJSU_SG_SG_EEESW_NS4_IJSN_NSI_IJLi3EEEENSI_IJLi4EEEEEEESO_lEELi128ELi128ELi16ELi4ELi4ELi4ELi1ENSI_IJLi8ELi2EEEES13_NSI_IJLi2ELi1ELi4ELi4EEEENSI_IJLi8ELi1ELi32ELi1EEEENSI_IJLi0ELi3ELi1ELi2EEEES16_NSI_IJLi1ELi1ELi4ELi1EEEES16_NSI_IJLi1ELi1ELi4ELi4EEEES14_S15_S16_S16_S17_S16_S18_NSI_IJLi0ELi1ELi2ELi3ELi4ELi5EEEELi5ELi4EEEaaNS3_INS4_IJSA_SE_SG_SG_NSB_INS4_IJiNS7_IiLi128EEEEEELb0EEENSF_ISC_EEEEENS4_IJSJ_SK_SL_SZ_SP_S10_EEENS4_IJSN_SO_SP_NSI_IJLi6EEEENSI_IJLi7ELi8EEEENSI_IJLi9EEEEEEENSI_IJLi6ELi7ELi8ELi9EEEElEENS3_INS4_IJSU_SE_SG_SG_S1D_S1E_EEENS4_IJSJ_SL_SK_SZ_SP_S10_EEES1K_S1L_lEENS3_INS4_IJSU_SG_SG_NSB_INS4_IJiNS7_IiLi2EEENS7_IiLi64EEEEEELb0EEES1T_EEENS4_IJSJ_SL_SK_SZ_S10_EEENS4_IJSN_SZ_S10_NSI_IJLi5ELi6ELi7EEEENSI_IJLi8ELi9ELi10EEEEEEENSI_IJLi5ELi6ELi7ELi8ELi9ELi10EEEElEENS_31BlockToCTileMap_M00_N00_M01_N01ILi128ELi128ES12_Lb0EEELb0ELb1EEEvPKT0_S25_PT1_T2_T3_T4_T5_.uses_flat_scratch, 0
	.set _ZN2ck19kernel_gemm_dl_v1r3INS_28GridwiseGemmDl_km_kn_mn_v1r3ILi256EaiaLNS_25InMemoryDataOperationEnumE0ENS_16TensorDescriptorINS_5TupleIJNS_5EmbedINS4_IJiiEEENS4_IJNS_17integral_constantIiLi1EEEiEEELb0EEENS_7UnMergeINS4_IJiNS7_IiLi4EEEEEELb0EEENS_11PassThroughIiEEEEENS4_IJNS_8SequenceIJLi0EEEENSI_IJLi2EEEENSI_IJLi1EEEEEEENS4_IJNSI_IJLi1ELi2EEEENSI_IJLi3ELi4EEEENSI_IJLi5EEEEEEENSI_IJLi3ELi5ELi4EEEElEENS3_INS4_IJNS5_IS6_NS4_IJiS8_EEELb0EEESE_SG_EEENS4_IJSJ_SL_SK_EEESQ_SR_lEENS3_INS4_IJSU_SG_SG_EEESW_NS4_IJSN_NSI_IJLi3EEEENSI_IJLi4EEEEEEESO_lEELi128ELi128ELi16ELi4ELi4ELi4ELi1ENSI_IJLi8ELi2EEEES13_NSI_IJLi2ELi1ELi4ELi4EEEENSI_IJLi8ELi1ELi32ELi1EEEENSI_IJLi0ELi3ELi1ELi2EEEES16_NSI_IJLi1ELi1ELi4ELi1EEEES16_NSI_IJLi1ELi1ELi4ELi4EEEES14_S15_S16_S16_S17_S16_S18_NSI_IJLi0ELi1ELi2ELi3ELi4ELi5EEEELi5ELi4EEEaaNS3_INS4_IJSA_SE_SG_SG_NSB_INS4_IJiNS7_IiLi128EEEEEELb0EEENSF_ISC_EEEEENS4_IJSJ_SK_SL_SZ_SP_S10_EEENS4_IJSN_SO_SP_NSI_IJLi6EEEENSI_IJLi7ELi8EEEENSI_IJLi9EEEEEEENSI_IJLi6ELi7ELi8ELi9EEEElEENS3_INS4_IJSU_SE_SG_SG_S1D_S1E_EEENS4_IJSJ_SL_SK_SZ_SP_S10_EEES1K_S1L_lEENS3_INS4_IJSU_SG_SG_NSB_INS4_IJiNS7_IiLi2EEENS7_IiLi64EEEEEELb0EEES1T_EEENS4_IJSJ_SL_SK_SZ_S10_EEENS4_IJSN_SZ_S10_NSI_IJLi5ELi6ELi7EEEENSI_IJLi8ELi9ELi10EEEEEEENSI_IJLi5ELi6ELi7ELi8ELi9ELi10EEEElEENS_31BlockToCTileMap_M00_N00_M01_N01ILi128ELi128ES12_Lb0EEELb0ELb1EEEvPKT0_S25_PT1_T2_T3_T4_T5_.has_dyn_sized_stack, 0
	.set _ZN2ck19kernel_gemm_dl_v1r3INS_28GridwiseGemmDl_km_kn_mn_v1r3ILi256EaiaLNS_25InMemoryDataOperationEnumE0ENS_16TensorDescriptorINS_5TupleIJNS_5EmbedINS4_IJiiEEENS4_IJNS_17integral_constantIiLi1EEEiEEELb0EEENS_7UnMergeINS4_IJiNS7_IiLi4EEEEEELb0EEENS_11PassThroughIiEEEEENS4_IJNS_8SequenceIJLi0EEEENSI_IJLi2EEEENSI_IJLi1EEEEEEENS4_IJNSI_IJLi1ELi2EEEENSI_IJLi3ELi4EEEENSI_IJLi5EEEEEEENSI_IJLi3ELi5ELi4EEEElEENS3_INS4_IJNS5_IS6_NS4_IJiS8_EEELb0EEESE_SG_EEENS4_IJSJ_SL_SK_EEESQ_SR_lEENS3_INS4_IJSU_SG_SG_EEESW_NS4_IJSN_NSI_IJLi3EEEENSI_IJLi4EEEEEEESO_lEELi128ELi128ELi16ELi4ELi4ELi4ELi1ENSI_IJLi8ELi2EEEES13_NSI_IJLi2ELi1ELi4ELi4EEEENSI_IJLi8ELi1ELi32ELi1EEEENSI_IJLi0ELi3ELi1ELi2EEEES16_NSI_IJLi1ELi1ELi4ELi1EEEES16_NSI_IJLi1ELi1ELi4ELi4EEEES14_S15_S16_S16_S17_S16_S18_NSI_IJLi0ELi1ELi2ELi3ELi4ELi5EEEELi5ELi4EEEaaNS3_INS4_IJSA_SE_SG_SG_NSB_INS4_IJiNS7_IiLi128EEEEEELb0EEENSF_ISC_EEEEENS4_IJSJ_SK_SL_SZ_SP_S10_EEENS4_IJSN_SO_SP_NSI_IJLi6EEEENSI_IJLi7ELi8EEEENSI_IJLi9EEEEEEENSI_IJLi6ELi7ELi8ELi9EEEElEENS3_INS4_IJSU_SE_SG_SG_S1D_S1E_EEENS4_IJSJ_SL_SK_SZ_SP_S10_EEES1K_S1L_lEENS3_INS4_IJSU_SG_SG_NSB_INS4_IJiNS7_IiLi2EEENS7_IiLi64EEEEEELb0EEES1T_EEENS4_IJSJ_SL_SK_SZ_S10_EEENS4_IJSN_SZ_S10_NSI_IJLi5ELi6ELi7EEEENSI_IJLi8ELi9ELi10EEEEEEENSI_IJLi5ELi6ELi7ELi8ELi9ELi10EEEElEENS_31BlockToCTileMap_M00_N00_M01_N01ILi128ELi128ES12_Lb0EEELb0ELb1EEEvPKT0_S25_PT1_T2_T3_T4_T5_.has_recursion, 0
	.set _ZN2ck19kernel_gemm_dl_v1r3INS_28GridwiseGemmDl_km_kn_mn_v1r3ILi256EaiaLNS_25InMemoryDataOperationEnumE0ENS_16TensorDescriptorINS_5TupleIJNS_5EmbedINS4_IJiiEEENS4_IJNS_17integral_constantIiLi1EEEiEEELb0EEENS_7UnMergeINS4_IJiNS7_IiLi4EEEEEELb0EEENS_11PassThroughIiEEEEENS4_IJNS_8SequenceIJLi0EEEENSI_IJLi2EEEENSI_IJLi1EEEEEEENS4_IJNSI_IJLi1ELi2EEEENSI_IJLi3ELi4EEEENSI_IJLi5EEEEEEENSI_IJLi3ELi5ELi4EEEElEENS3_INS4_IJNS5_IS6_NS4_IJiS8_EEELb0EEESE_SG_EEENS4_IJSJ_SL_SK_EEESQ_SR_lEENS3_INS4_IJSU_SG_SG_EEESW_NS4_IJSN_NSI_IJLi3EEEENSI_IJLi4EEEEEEESO_lEELi128ELi128ELi16ELi4ELi4ELi4ELi1ENSI_IJLi8ELi2EEEES13_NSI_IJLi2ELi1ELi4ELi4EEEENSI_IJLi8ELi1ELi32ELi1EEEENSI_IJLi0ELi3ELi1ELi2EEEES16_NSI_IJLi1ELi1ELi4ELi1EEEES16_NSI_IJLi1ELi1ELi4ELi4EEEES14_S15_S16_S16_S17_S16_S18_NSI_IJLi0ELi1ELi2ELi3ELi4ELi5EEEELi5ELi4EEEaaNS3_INS4_IJSA_SE_SG_SG_NSB_INS4_IJiNS7_IiLi128EEEEEELb0EEENSF_ISC_EEEEENS4_IJSJ_SK_SL_SZ_SP_S10_EEENS4_IJSN_SO_SP_NSI_IJLi6EEEENSI_IJLi7ELi8EEEENSI_IJLi9EEEEEEENSI_IJLi6ELi7ELi8ELi9EEEElEENS3_INS4_IJSU_SE_SG_SG_S1D_S1E_EEENS4_IJSJ_SL_SK_SZ_SP_S10_EEES1K_S1L_lEENS3_INS4_IJSU_SG_SG_NSB_INS4_IJiNS7_IiLi2EEENS7_IiLi64EEEEEELb0EEES1T_EEENS4_IJSJ_SL_SK_SZ_S10_EEENS4_IJSN_SZ_S10_NSI_IJLi5ELi6ELi7EEEENSI_IJLi8ELi9ELi10EEEEEEENSI_IJLi5ELi6ELi7ELi8ELi9ELi10EEEElEENS_31BlockToCTileMap_M00_N00_M01_N01ILi128ELi128ES12_Lb0EEELb0ELb1EEEvPKT0_S25_PT1_T2_T3_T4_T5_.has_indirect_call, 0
	.section	.AMDGPU.csdata,"",@progbits
; Kernel info:
; codeLenInByte = 12420
; TotalNumSgprs: 46
; NumVgprs: 98
; NumAgprs: 0
; TotalNumVgprs: 98
; ScratchSize: 0
; MemoryBound: 0
; FloatMode: 240
; IeeeMode: 1
; LDSByteSize: 32768 bytes/workgroup (compile time only)
; SGPRBlocks: 12
; VGPRBlocks: 12
; NumSGPRsForWavesPerEU: 102
; NumVGPRsForWavesPerEU: 98
; AccumOffset: 100
; Occupancy: 4
; WaveLimiterHint : 0
; COMPUTE_PGM_RSRC2:SCRATCH_EN: 0
; COMPUTE_PGM_RSRC2:USER_SGPR: 2
; COMPUTE_PGM_RSRC2:TRAP_HANDLER: 0
; COMPUTE_PGM_RSRC2:TGID_X_EN: 1
; COMPUTE_PGM_RSRC2:TGID_Y_EN: 0
; COMPUTE_PGM_RSRC2:TGID_Z_EN: 0
; COMPUTE_PGM_RSRC2:TIDIG_COMP_CNT: 0
; COMPUTE_PGM_RSRC3_GFX90A:ACCUM_OFFSET: 24
; COMPUTE_PGM_RSRC3_GFX90A:TG_SPLIT: 0
	.section	.text._ZN2ck19kernel_gemm_dl_v1r3INS_28GridwiseGemmDl_km_kn_mn_v1r3ILi256EaiaLNS_25InMemoryDataOperationEnumE0ENS_16TensorDescriptorINS_5TupleIJNS_5EmbedINS4_IJiiEEENS4_IJNS_17integral_constantIiLi1EEEiEEELb0EEENS_7UnMergeINS4_IJiNS7_IiLi4EEEEEELb0EEENS_11PassThroughIiEEEEENS4_IJNS_8SequenceIJLi0EEEENSI_IJLi2EEEENSI_IJLi1EEEEEEENS4_IJNSI_IJLi1ELi2EEEENSI_IJLi3ELi4EEEENSI_IJLi5EEEEEEENSI_IJLi3ELi5ELi4EEEElEENS3_INS4_IJNS5_IS6_NS4_IJiS8_EEELb0EEESE_SG_EEENS4_IJSJ_SL_SK_EEESQ_SR_lEENS3_INS4_IJSU_SG_SG_EEESW_NS4_IJSN_NSI_IJLi3EEEENSI_IJLi4EEEEEEESO_lEELi128ELi128ELi16ELi4ELi4ELi4ELi1ENSI_IJLi8ELi2EEEES13_NSI_IJLi2ELi1ELi4ELi4EEEENSI_IJLi8ELi1ELi32ELi1EEEENSI_IJLi0ELi3ELi1ELi2EEEES16_NSI_IJLi1ELi1ELi4ELi1EEEES16_NSI_IJLi1ELi1ELi4ELi4EEEES14_S15_S16_S16_S17_S16_S18_NSI_IJLi0ELi1ELi2ELi3ELi4ELi5EEEELi5ELi4EEEaaNS3_INS4_IJSA_SE_SG_SG_NSB_INS4_IJiNS7_IiLi128EEEEEELb0EEENSF_ISC_EEEEENS4_IJSJ_SK_SL_SZ_SP_S10_EEENS4_IJSN_SO_SP_NSI_IJLi6EEEENSI_IJLi7ELi8EEEENSI_IJLi9EEEEEEENSI_IJLi6ELi7ELi8ELi9EEEElEENS3_INS4_IJSU_SE_SG_SG_S1D_S1E_EEENS4_IJSJ_SL_SK_SZ_SP_S10_EEES1K_S1L_lEENS3_INS4_IJSU_SG_SG_NSB_INS4_IJiNS7_IiLi2EEENS7_IiLi64EEEEEELb0EEES1T_EEENS4_IJSJ_SL_SK_SZ_S10_EEENS4_IJSN_SZ_S10_NSI_IJLi5ELi6ELi7EEEENSI_IJLi8ELi9ELi10EEEEEEENSI_IJLi5ELi6ELi7ELi8ELi9ELi10EEEElEENS_31BlockToCTileMap_M00_N00_M01_N01ILi128ELi128ES12_Lb0EEELb0ELb0EEEvPKT0_S25_PT1_T2_T3_T4_T5_,"axG",@progbits,_ZN2ck19kernel_gemm_dl_v1r3INS_28GridwiseGemmDl_km_kn_mn_v1r3ILi256EaiaLNS_25InMemoryDataOperationEnumE0ENS_16TensorDescriptorINS_5TupleIJNS_5EmbedINS4_IJiiEEENS4_IJNS_17integral_constantIiLi1EEEiEEELb0EEENS_7UnMergeINS4_IJiNS7_IiLi4EEEEEELb0EEENS_11PassThroughIiEEEEENS4_IJNS_8SequenceIJLi0EEEENSI_IJLi2EEEENSI_IJLi1EEEEEEENS4_IJNSI_IJLi1ELi2EEEENSI_IJLi3ELi4EEEENSI_IJLi5EEEEEEENSI_IJLi3ELi5ELi4EEEElEENS3_INS4_IJNS5_IS6_NS4_IJiS8_EEELb0EEESE_SG_EEENS4_IJSJ_SL_SK_EEESQ_SR_lEENS3_INS4_IJSU_SG_SG_EEESW_NS4_IJSN_NSI_IJLi3EEEENSI_IJLi4EEEEEEESO_lEELi128ELi128ELi16ELi4ELi4ELi4ELi1ENSI_IJLi8ELi2EEEES13_NSI_IJLi2ELi1ELi4ELi4EEEENSI_IJLi8ELi1ELi32ELi1EEEENSI_IJLi0ELi3ELi1ELi2EEEES16_NSI_IJLi1ELi1ELi4ELi1EEEES16_NSI_IJLi1ELi1ELi4ELi4EEEES14_S15_S16_S16_S17_S16_S18_NSI_IJLi0ELi1ELi2ELi3ELi4ELi5EEEELi5ELi4EEEaaNS3_INS4_IJSA_SE_SG_SG_NSB_INS4_IJiNS7_IiLi128EEEEEELb0EEENSF_ISC_EEEEENS4_IJSJ_SK_SL_SZ_SP_S10_EEENS4_IJSN_SO_SP_NSI_IJLi6EEEENSI_IJLi7ELi8EEEENSI_IJLi9EEEEEEENSI_IJLi6ELi7ELi8ELi9EEEElEENS3_INS4_IJSU_SE_SG_SG_S1D_S1E_EEENS4_IJSJ_SL_SK_SZ_SP_S10_EEES1K_S1L_lEENS3_INS4_IJSU_SG_SG_NSB_INS4_IJiNS7_IiLi2EEENS7_IiLi64EEEEEELb0EEES1T_EEENS4_IJSJ_SL_SK_SZ_S10_EEENS4_IJSN_SZ_S10_NSI_IJLi5ELi6ELi7EEEENSI_IJLi8ELi9ELi10EEEEEEENSI_IJLi5ELi6ELi7ELi8ELi9ELi10EEEElEENS_31BlockToCTileMap_M00_N00_M01_N01ILi128ELi128ES12_Lb0EEELb0ELb0EEEvPKT0_S25_PT1_T2_T3_T4_T5_,comdat
	.protected	_ZN2ck19kernel_gemm_dl_v1r3INS_28GridwiseGemmDl_km_kn_mn_v1r3ILi256EaiaLNS_25InMemoryDataOperationEnumE0ENS_16TensorDescriptorINS_5TupleIJNS_5EmbedINS4_IJiiEEENS4_IJNS_17integral_constantIiLi1EEEiEEELb0EEENS_7UnMergeINS4_IJiNS7_IiLi4EEEEEELb0EEENS_11PassThroughIiEEEEENS4_IJNS_8SequenceIJLi0EEEENSI_IJLi2EEEENSI_IJLi1EEEEEEENS4_IJNSI_IJLi1ELi2EEEENSI_IJLi3ELi4EEEENSI_IJLi5EEEEEEENSI_IJLi3ELi5ELi4EEEElEENS3_INS4_IJNS5_IS6_NS4_IJiS8_EEELb0EEESE_SG_EEENS4_IJSJ_SL_SK_EEESQ_SR_lEENS3_INS4_IJSU_SG_SG_EEESW_NS4_IJSN_NSI_IJLi3EEEENSI_IJLi4EEEEEEESO_lEELi128ELi128ELi16ELi4ELi4ELi4ELi1ENSI_IJLi8ELi2EEEES13_NSI_IJLi2ELi1ELi4ELi4EEEENSI_IJLi8ELi1ELi32ELi1EEEENSI_IJLi0ELi3ELi1ELi2EEEES16_NSI_IJLi1ELi1ELi4ELi1EEEES16_NSI_IJLi1ELi1ELi4ELi4EEEES14_S15_S16_S16_S17_S16_S18_NSI_IJLi0ELi1ELi2ELi3ELi4ELi5EEEELi5ELi4EEEaaNS3_INS4_IJSA_SE_SG_SG_NSB_INS4_IJiNS7_IiLi128EEEEEELb0EEENSF_ISC_EEEEENS4_IJSJ_SK_SL_SZ_SP_S10_EEENS4_IJSN_SO_SP_NSI_IJLi6EEEENSI_IJLi7ELi8EEEENSI_IJLi9EEEEEEENSI_IJLi6ELi7ELi8ELi9EEEElEENS3_INS4_IJSU_SE_SG_SG_S1D_S1E_EEENS4_IJSJ_SL_SK_SZ_SP_S10_EEES1K_S1L_lEENS3_INS4_IJSU_SG_SG_NSB_INS4_IJiNS7_IiLi2EEENS7_IiLi64EEEEEELb0EEES1T_EEENS4_IJSJ_SL_SK_SZ_S10_EEENS4_IJSN_SZ_S10_NSI_IJLi5ELi6ELi7EEEENSI_IJLi8ELi9ELi10EEEEEEENSI_IJLi5ELi6ELi7ELi8ELi9ELi10EEEElEENS_31BlockToCTileMap_M00_N00_M01_N01ILi128ELi128ES12_Lb0EEELb0ELb0EEEvPKT0_S25_PT1_T2_T3_T4_T5_ ; -- Begin function _ZN2ck19kernel_gemm_dl_v1r3INS_28GridwiseGemmDl_km_kn_mn_v1r3ILi256EaiaLNS_25InMemoryDataOperationEnumE0ENS_16TensorDescriptorINS_5TupleIJNS_5EmbedINS4_IJiiEEENS4_IJNS_17integral_constantIiLi1EEEiEEELb0EEENS_7UnMergeINS4_IJiNS7_IiLi4EEEEEELb0EEENS_11PassThroughIiEEEEENS4_IJNS_8SequenceIJLi0EEEENSI_IJLi2EEEENSI_IJLi1EEEEEEENS4_IJNSI_IJLi1ELi2EEEENSI_IJLi3ELi4EEEENSI_IJLi5EEEEEEENSI_IJLi3ELi5ELi4EEEElEENS3_INS4_IJNS5_IS6_NS4_IJiS8_EEELb0EEESE_SG_EEENS4_IJSJ_SL_SK_EEESQ_SR_lEENS3_INS4_IJSU_SG_SG_EEESW_NS4_IJSN_NSI_IJLi3EEEENSI_IJLi4EEEEEEESO_lEELi128ELi128ELi16ELi4ELi4ELi4ELi1ENSI_IJLi8ELi2EEEES13_NSI_IJLi2ELi1ELi4ELi4EEEENSI_IJLi8ELi1ELi32ELi1EEEENSI_IJLi0ELi3ELi1ELi2EEEES16_NSI_IJLi1ELi1ELi4ELi1EEEES16_NSI_IJLi1ELi1ELi4ELi4EEEES14_S15_S16_S16_S17_S16_S18_NSI_IJLi0ELi1ELi2ELi3ELi4ELi5EEEELi5ELi4EEEaaNS3_INS4_IJSA_SE_SG_SG_NSB_INS4_IJiNS7_IiLi128EEEEEELb0EEENSF_ISC_EEEEENS4_IJSJ_SK_SL_SZ_SP_S10_EEENS4_IJSN_SO_SP_NSI_IJLi6EEEENSI_IJLi7ELi8EEEENSI_IJLi9EEEEEEENSI_IJLi6ELi7ELi8ELi9EEEElEENS3_INS4_IJSU_SE_SG_SG_S1D_S1E_EEENS4_IJSJ_SL_SK_SZ_SP_S10_EEES1K_S1L_lEENS3_INS4_IJSU_SG_SG_NSB_INS4_IJiNS7_IiLi2EEENS7_IiLi64EEEEEELb0EEES1T_EEENS4_IJSJ_SL_SK_SZ_S10_EEENS4_IJSN_SZ_S10_NSI_IJLi5ELi6ELi7EEEENSI_IJLi8ELi9ELi10EEEEEEENSI_IJLi5ELi6ELi7ELi8ELi9ELi10EEEElEENS_31BlockToCTileMap_M00_N00_M01_N01ILi128ELi128ES12_Lb0EEELb0ELb0EEEvPKT0_S25_PT1_T2_T3_T4_T5_
	.globl	_ZN2ck19kernel_gemm_dl_v1r3INS_28GridwiseGemmDl_km_kn_mn_v1r3ILi256EaiaLNS_25InMemoryDataOperationEnumE0ENS_16TensorDescriptorINS_5TupleIJNS_5EmbedINS4_IJiiEEENS4_IJNS_17integral_constantIiLi1EEEiEEELb0EEENS_7UnMergeINS4_IJiNS7_IiLi4EEEEEELb0EEENS_11PassThroughIiEEEEENS4_IJNS_8SequenceIJLi0EEEENSI_IJLi2EEEENSI_IJLi1EEEEEEENS4_IJNSI_IJLi1ELi2EEEENSI_IJLi3ELi4EEEENSI_IJLi5EEEEEEENSI_IJLi3ELi5ELi4EEEElEENS3_INS4_IJNS5_IS6_NS4_IJiS8_EEELb0EEESE_SG_EEENS4_IJSJ_SL_SK_EEESQ_SR_lEENS3_INS4_IJSU_SG_SG_EEESW_NS4_IJSN_NSI_IJLi3EEEENSI_IJLi4EEEEEEESO_lEELi128ELi128ELi16ELi4ELi4ELi4ELi1ENSI_IJLi8ELi2EEEES13_NSI_IJLi2ELi1ELi4ELi4EEEENSI_IJLi8ELi1ELi32ELi1EEEENSI_IJLi0ELi3ELi1ELi2EEEES16_NSI_IJLi1ELi1ELi4ELi1EEEES16_NSI_IJLi1ELi1ELi4ELi4EEEES14_S15_S16_S16_S17_S16_S18_NSI_IJLi0ELi1ELi2ELi3ELi4ELi5EEEELi5ELi4EEEaaNS3_INS4_IJSA_SE_SG_SG_NSB_INS4_IJiNS7_IiLi128EEEEEELb0EEENSF_ISC_EEEEENS4_IJSJ_SK_SL_SZ_SP_S10_EEENS4_IJSN_SO_SP_NSI_IJLi6EEEENSI_IJLi7ELi8EEEENSI_IJLi9EEEEEEENSI_IJLi6ELi7ELi8ELi9EEEElEENS3_INS4_IJSU_SE_SG_SG_S1D_S1E_EEENS4_IJSJ_SL_SK_SZ_SP_S10_EEES1K_S1L_lEENS3_INS4_IJSU_SG_SG_NSB_INS4_IJiNS7_IiLi2EEENS7_IiLi64EEEEEELb0EEES1T_EEENS4_IJSJ_SL_SK_SZ_S10_EEENS4_IJSN_SZ_S10_NSI_IJLi5ELi6ELi7EEEENSI_IJLi8ELi9ELi10EEEEEEENSI_IJLi5ELi6ELi7ELi8ELi9ELi10EEEElEENS_31BlockToCTileMap_M00_N00_M01_N01ILi128ELi128ES12_Lb0EEELb0ELb0EEEvPKT0_S25_PT1_T2_T3_T4_T5_
	.p2align	8
	.type	_ZN2ck19kernel_gemm_dl_v1r3INS_28GridwiseGemmDl_km_kn_mn_v1r3ILi256EaiaLNS_25InMemoryDataOperationEnumE0ENS_16TensorDescriptorINS_5TupleIJNS_5EmbedINS4_IJiiEEENS4_IJNS_17integral_constantIiLi1EEEiEEELb0EEENS_7UnMergeINS4_IJiNS7_IiLi4EEEEEELb0EEENS_11PassThroughIiEEEEENS4_IJNS_8SequenceIJLi0EEEENSI_IJLi2EEEENSI_IJLi1EEEEEEENS4_IJNSI_IJLi1ELi2EEEENSI_IJLi3ELi4EEEENSI_IJLi5EEEEEEENSI_IJLi3ELi5ELi4EEEElEENS3_INS4_IJNS5_IS6_NS4_IJiS8_EEELb0EEESE_SG_EEENS4_IJSJ_SL_SK_EEESQ_SR_lEENS3_INS4_IJSU_SG_SG_EEESW_NS4_IJSN_NSI_IJLi3EEEENSI_IJLi4EEEEEEESO_lEELi128ELi128ELi16ELi4ELi4ELi4ELi1ENSI_IJLi8ELi2EEEES13_NSI_IJLi2ELi1ELi4ELi4EEEENSI_IJLi8ELi1ELi32ELi1EEEENSI_IJLi0ELi3ELi1ELi2EEEES16_NSI_IJLi1ELi1ELi4ELi1EEEES16_NSI_IJLi1ELi1ELi4ELi4EEEES14_S15_S16_S16_S17_S16_S18_NSI_IJLi0ELi1ELi2ELi3ELi4ELi5EEEELi5ELi4EEEaaNS3_INS4_IJSA_SE_SG_SG_NSB_INS4_IJiNS7_IiLi128EEEEEELb0EEENSF_ISC_EEEEENS4_IJSJ_SK_SL_SZ_SP_S10_EEENS4_IJSN_SO_SP_NSI_IJLi6EEEENSI_IJLi7ELi8EEEENSI_IJLi9EEEEEEENSI_IJLi6ELi7ELi8ELi9EEEElEENS3_INS4_IJSU_SE_SG_SG_S1D_S1E_EEENS4_IJSJ_SL_SK_SZ_SP_S10_EEES1K_S1L_lEENS3_INS4_IJSU_SG_SG_NSB_INS4_IJiNS7_IiLi2EEENS7_IiLi64EEEEEELb0EEES1T_EEENS4_IJSJ_SL_SK_SZ_S10_EEENS4_IJSN_SZ_S10_NSI_IJLi5ELi6ELi7EEEENSI_IJLi8ELi9ELi10EEEEEEENSI_IJLi5ELi6ELi7ELi8ELi9ELi10EEEElEENS_31BlockToCTileMap_M00_N00_M01_N01ILi128ELi128ES12_Lb0EEELb0ELb0EEEvPKT0_S25_PT1_T2_T3_T4_T5_,@function
_ZN2ck19kernel_gemm_dl_v1r3INS_28GridwiseGemmDl_km_kn_mn_v1r3ILi256EaiaLNS_25InMemoryDataOperationEnumE0ENS_16TensorDescriptorINS_5TupleIJNS_5EmbedINS4_IJiiEEENS4_IJNS_17integral_constantIiLi1EEEiEEELb0EEENS_7UnMergeINS4_IJiNS7_IiLi4EEEEEELb0EEENS_11PassThroughIiEEEEENS4_IJNS_8SequenceIJLi0EEEENSI_IJLi2EEEENSI_IJLi1EEEEEEENS4_IJNSI_IJLi1ELi2EEEENSI_IJLi3ELi4EEEENSI_IJLi5EEEEEEENSI_IJLi3ELi5ELi4EEEElEENS3_INS4_IJNS5_IS6_NS4_IJiS8_EEELb0EEESE_SG_EEENS4_IJSJ_SL_SK_EEESQ_SR_lEENS3_INS4_IJSU_SG_SG_EEESW_NS4_IJSN_NSI_IJLi3EEEENSI_IJLi4EEEEEEESO_lEELi128ELi128ELi16ELi4ELi4ELi4ELi1ENSI_IJLi8ELi2EEEES13_NSI_IJLi2ELi1ELi4ELi4EEEENSI_IJLi8ELi1ELi32ELi1EEEENSI_IJLi0ELi3ELi1ELi2EEEES16_NSI_IJLi1ELi1ELi4ELi1EEEES16_NSI_IJLi1ELi1ELi4ELi4EEEES14_S15_S16_S16_S17_S16_S18_NSI_IJLi0ELi1ELi2ELi3ELi4ELi5EEEELi5ELi4EEEaaNS3_INS4_IJSA_SE_SG_SG_NSB_INS4_IJiNS7_IiLi128EEEEEELb0EEENSF_ISC_EEEEENS4_IJSJ_SK_SL_SZ_SP_S10_EEENS4_IJSN_SO_SP_NSI_IJLi6EEEENSI_IJLi7ELi8EEEENSI_IJLi9EEEEEEENSI_IJLi6ELi7ELi8ELi9EEEElEENS3_INS4_IJSU_SE_SG_SG_S1D_S1E_EEENS4_IJSJ_SL_SK_SZ_SP_S10_EEES1K_S1L_lEENS3_INS4_IJSU_SG_SG_NSB_INS4_IJiNS7_IiLi2EEENS7_IiLi64EEEEEELb0EEES1T_EEENS4_IJSJ_SL_SK_SZ_S10_EEENS4_IJSN_SZ_S10_NSI_IJLi5ELi6ELi7EEEENSI_IJLi8ELi9ELi10EEEEEEENSI_IJLi5ELi6ELi7ELi8ELi9ELi10EEEElEENS_31BlockToCTileMap_M00_N00_M01_N01ILi128ELi128ES12_Lb0EEELb0ELb0EEEvPKT0_S25_PT1_T2_T3_T4_T5_: ; @_ZN2ck19kernel_gemm_dl_v1r3INS_28GridwiseGemmDl_km_kn_mn_v1r3ILi256EaiaLNS_25InMemoryDataOperationEnumE0ENS_16TensorDescriptorINS_5TupleIJNS_5EmbedINS4_IJiiEEENS4_IJNS_17integral_constantIiLi1EEEiEEELb0EEENS_7UnMergeINS4_IJiNS7_IiLi4EEEEEELb0EEENS_11PassThroughIiEEEEENS4_IJNS_8SequenceIJLi0EEEENSI_IJLi2EEEENSI_IJLi1EEEEEEENS4_IJNSI_IJLi1ELi2EEEENSI_IJLi3ELi4EEEENSI_IJLi5EEEEEEENSI_IJLi3ELi5ELi4EEEElEENS3_INS4_IJNS5_IS6_NS4_IJiS8_EEELb0EEESE_SG_EEENS4_IJSJ_SL_SK_EEESQ_SR_lEENS3_INS4_IJSU_SG_SG_EEESW_NS4_IJSN_NSI_IJLi3EEEENSI_IJLi4EEEEEEESO_lEELi128ELi128ELi16ELi4ELi4ELi4ELi1ENSI_IJLi8ELi2EEEES13_NSI_IJLi2ELi1ELi4ELi4EEEENSI_IJLi8ELi1ELi32ELi1EEEENSI_IJLi0ELi3ELi1ELi2EEEES16_NSI_IJLi1ELi1ELi4ELi1EEEES16_NSI_IJLi1ELi1ELi4ELi4EEEES14_S15_S16_S16_S17_S16_S18_NSI_IJLi0ELi1ELi2ELi3ELi4ELi5EEEELi5ELi4EEEaaNS3_INS4_IJSA_SE_SG_SG_NSB_INS4_IJiNS7_IiLi128EEEEEELb0EEENSF_ISC_EEEEENS4_IJSJ_SK_SL_SZ_SP_S10_EEENS4_IJSN_SO_SP_NSI_IJLi6EEEENSI_IJLi7ELi8EEEENSI_IJLi9EEEEEEENSI_IJLi6ELi7ELi8ELi9EEEElEENS3_INS4_IJSU_SE_SG_SG_S1D_S1E_EEENS4_IJSJ_SL_SK_SZ_SP_S10_EEES1K_S1L_lEENS3_INS4_IJSU_SG_SG_NSB_INS4_IJiNS7_IiLi2EEENS7_IiLi64EEEEEELb0EEES1T_EEENS4_IJSJ_SL_SK_SZ_S10_EEENS4_IJSN_SZ_S10_NSI_IJLi5ELi6ELi7EEEENSI_IJLi8ELi9ELi10EEEEEEENSI_IJLi5ELi6ELi7ELi8ELi9ELi10EEEElEENS_31BlockToCTileMap_M00_N00_M01_N01ILi128ELi128ES12_Lb0EEELb0ELb0EEEvPKT0_S25_PT1_T2_T3_T4_T5_
; %bb.0:
	s_load_dwordx4 s[24:27], s[0:1], 0x0
	s_load_dwordx2 s[12:13], s[0:1], 0x10
	s_load_dwordx8 s[4:11], s[0:1], 0x10c
	s_load_dwordx4 s[28:31], s[0:1], 0x130
	s_waitcnt lgkmcnt(0)
	s_load_dword s5, s[0:1], 0x24
	s_load_dword s18, s[0:1], 0x50
	;; [unrolled: 1-line block ×8, first 2 shown]
	s_load_dwordx4 s[36:39], s[0:1], 0x108
	v_lshrrev_b32_e32 v1, 4, v0
	s_mul_hi_u32 s11, s11, s2
	s_add_i32 s11, s2, s11
	s_lshr_b32 s1, s11, s31
	s_mul_hi_u32 s0, s1, s10
	s_add_i32 s0, s1, s0
	s_lshr_b32 s10, s0, s30
	;; [unrolled: 3-line block ×4, first 2 shown]
	s_waitcnt lgkmcnt(0)
	s_mul_i32 s8, s8, s36
	s_mul_i32 s4, s0, s4
	;; [unrolled: 1-line block ×3, first 2 shown]
	s_sub_i32 s0, s0, s8
	s_sub_i32 s8, s1, s9
	s_mul_i32 s0, s0, s15
	v_and_b32_e32 v1, 14, v1
	s_add_i32 s8, s8, s0
	v_lshlrev_b32_e32 v3, 2, v0
	v_lshlrev_b32_e32 v4, 2, v1
	v_and_b32_e32 v2, 0x7c, v3
	s_lshl_b32 s0, s8, 7
	v_mul_lo_u32 v5, s5, v4
	v_add3_u32 v5, v5, v2, s0
	v_add_u32_e32 v6, s5, v5
	s_and_b32 s17, s25, 0xffff
	s_mov_b32 s19, 0x20000
	s_mov_b32 s16, s24
	v_add_u32_e32 v7, s5, v6
	v_add_u32_e32 v8, s5, v7
	buffer_load_dword v9, v5, s[16:19], 0 offen
	buffer_load_dword v10, v6, s[16:19], 0 offen
	;; [unrolled: 1-line block ×4, first 2 shown]
	s_mul_i32 s1, s1, s6
	s_sub_i32 s4, s10, s4
	s_sub_i32 s1, s2, s1
	s_lshl_b32 s2, s5, 2
	s_mul_i32 s4, s4, s20
	v_add_u32_e32 v8, s2, v8
	v_add_u32_e32 v7, s2, v7
	;; [unrolled: 1-line block ×4, first 2 shown]
	buffer_load_dword v13, v8, s[16:19], 0 offen
	buffer_load_dword v14, v7, s[16:19], 0 offen
	;; [unrolled: 1-line block ×4, first 2 shown]
	s_add_i32 s1, s1, s4
	s_lshl_b32 s1, s1, 7
	v_mul_lo_u32 v4, s7, v4
	v_add3_u32 v4, v4, v2, s1
	v_add_u32_e32 v5, s7, v4
	s_and_b32 s21, s27, 0xffff
	s_mov_b32 s20, s26
	s_mov_b32 s23, s19
	v_add_u32_e32 v6, s7, v5
	v_add_u32_e32 v7, s7, v6
	buffer_load_dword v8, v4, s[20:23], 0 offen
	buffer_load_dword v17, v5, s[20:23], 0 offen
	;; [unrolled: 1-line block ×4, first 2 shown]
	s_lshl_b32 s2, s7, 2
	v_add_u32_e32 v7, s2, v7
	v_add_u32_e32 v6, s2, v6
	;; [unrolled: 1-line block ×4, first 2 shown]
	buffer_load_dword v20, v7, s[20:23], 0 offen
	buffer_load_dword v21, v5, s[20:23], 0 offen
	;; [unrolled: 1-line block ×4, first 2 shown]
	v_lshrrev_b32_e32 v4, 5, v0
	v_lshlrev_b32_e32 v0, 1, v0
	v_lshlrev_b32_e32 v5, 6, v4
	v_and_b32_e32 v6, 0x1f8, v0
	s_mov_b32 s2, 0xc0c0004
	s_mov_b32 s4, 0xc0c0105
	v_lshlrev_b32_e32 v4, 3, v4
	v_lshlrev_b32_e32 v7, 2, v2
	v_sub_u32_e32 v5, v6, v5
	v_and_or_b32 v2, v0, 4, v4
	v_lshl_or_b32 v0, v1, 9, v7
	v_and_or_b32 v1, v3, 4, v5
	s_mov_b32 s5, 0xc0c0206
	s_mov_b32 s6, 0xc0c0307
	v_lshlrev_b32_e32 v66, 2, v2
	v_lshlrev_b32_e32 v67, 2, v1
	v_mov_b32_e32 v34, 0
	v_mov_b32_e32 v44, 0
	;; [unrolled: 1-line block ×34, first 2 shown]
	s_waitcnt vmcnt(14)
	v_perm_b32 v3, v9, v10, s2
	v_perm_b32 v5, v9, v10, s4
	s_waitcnt vmcnt(12)
	v_perm_b32 v4, v11, v12, s2
	v_perm_b32 v6, v11, v12, s4
	v_lshl_or_b32 v4, v4, 16, v3
	v_lshl_or_b32 v5, v6, 16, v5
	v_perm_b32 v3, v9, v10, s5
	v_perm_b32 v6, v11, v12, s5
	v_lshl_or_b32 v6, v6, 16, v3
	v_perm_b32 v3, v9, v10, s6
	v_perm_b32 v7, v11, v12, s6
	v_lshl_or_b32 v7, v7, 16, v3
	ds_write_b128 v0, v[4:7]
	s_waitcnt vmcnt(8)
	v_perm_b32 v3, v16, v15, s2
	v_perm_b32 v4, v14, v13, s2
	v_lshl_or_b32 v4, v4, 16, v3
	v_perm_b32 v3, v16, v15, s4
	v_perm_b32 v5, v14, v13, s4
	v_lshl_or_b32 v5, v5, 16, v3
	;; [unrolled: 3-line block ×4, first 2 shown]
	ds_write_b128 v0, v[4:7] offset:512
	s_waitcnt vmcnt(6)
	v_perm_b32 v3, v8, v17, s2
	s_waitcnt vmcnt(4)
	v_perm_b32 v4, v18, v19, s2
	v_lshl_or_b32 v4, v4, 16, v3
	v_perm_b32 v3, v8, v17, s4
	v_perm_b32 v5, v18, v19, s4
	v_lshl_or_b32 v5, v5, 16, v3
	v_perm_b32 v3, v8, v17, s5
	;; [unrolled: 3-line block ×3, first 2 shown]
	v_perm_b32 v7, v18, v19, s6
	v_lshl_or_b32 v7, v7, 16, v3
	ds_write_b128 v0, v[4:7] offset:16384
	s_waitcnt vmcnt(1)
	v_perm_b32 v3, v22, v21, s2
	s_waitcnt vmcnt(0)
	v_perm_b32 v4, v23, v20, s2
	v_lshl_or_b32 v4, v4, 16, v3
	v_perm_b32 v3, v22, v21, s4
	v_perm_b32 v5, v23, v20, s4
	v_lshl_or_b32 v5, v5, 16, v3
	v_perm_b32 v3, v22, v21, s5
	;; [unrolled: 3-line block ×3, first 2 shown]
	v_perm_b32 v7, v23, v20, s6
	v_lshl_or_b32 v7, v7, 16, v3
	ds_write_b128 v0, v[4:7] offset:16896
	s_waitcnt lgkmcnt(0)
	s_barrier
	ds_read_b128 v[24:27], v66
	ds_read_b128 v[56:59], v67 offset:16384
	ds_read_b128 v[68:71], v67 offset:16640
	;; [unrolled: 1-line block ×3, first 2 shown]
	v_mov_b32_e32 v7, 0
	v_mov_b32_e32 v8, 0
	;; [unrolled: 1-line block ×6, first 2 shown]
	s_waitcnt lgkmcnt(2)
	v_dot4c_i32_i8_e32 v7, v27, v56
	v_dot4c_i32_i8_e32 v8, v27, v57
	;; [unrolled: 1-line block ×4, first 2 shown]
	s_waitcnt lgkmcnt(1)
	v_dot4c_i32_i8_e32 v34, v27, v68
	v_dot4c_i32_i8_e32 v44, v27, v69
	;; [unrolled: 1-line block ×4, first 2 shown]
	v_mov_b32_e32 v3, 0
	v_mov_b32_e32 v11, 0
	;; [unrolled: 1-line block ×3, first 2 shown]
	v_dot4c_i32_i8_e32 v32, v24, v56
	v_dot4c_i32_i8_e32 v15, v25, v56
	v_mov_b32_e32 v18, 0
	v_dot4c_i32_i8_e32 v16, v26, v56
	v_mov_b32_e32 v21, 0
	s_waitcnt lgkmcnt(0)
	v_dot4c_i32_i8_e32 v3, v72, v56
	v_mov_b32_e32 v4, 0
	v_dot4c_i32_i8_e32 v11, v73, v56
	v_mov_b32_e32 v12, 0
	v_dot4c_i32_i8_e32 v27, v74, v56
	v_dot4c_i32_i8_e32 v49, v75, v56
	v_mov_b32_e32 v56, 0
	v_dot4c_i32_i8_e32 v39, v24, v57
	;; [unrolled: 3-line block ×3, first 2 shown]
	v_mov_b32_e32 v22, 0
	v_dot4c_i32_i8_e32 v4, v72, v57
	v_mov_b32_e32 v5, 0
	v_dot4c_i32_i8_e32 v12, v73, v57
	;; [unrolled: 2-line block ×3, first 2 shown]
	v_dot4c_i32_i8_e32 v56, v75, v57
	v_mov_b32_e32 v57, 0
	v_dot4c_i32_i8_e32 v40, v24, v58
	v_dot4c_i32_i8_e32 v19, v25, v58
	v_mov_b32_e32 v20, 0
	v_dot4c_i32_i8_e32 v22, v26, v58
	v_mov_b32_e32 v23, 0
	;; [unrolled: 2-line block ×4, first 2 shown]
	v_dot4c_i32_i8_e32 v29, v74, v58
	v_dot4c_i32_i8_e32 v57, v75, v58
	v_mov_b32_e32 v58, 0
	v_mov_b32_e32 v0, 0
	v_dot4c_i32_i8_e32 v38, v24, v59
	v_dot4c_i32_i8_e32 v20, v25, v59
	;; [unrolled: 1-line block ×19, first 2 shown]
	v_mov_b32_e32 v17, 0
	v_mov_b32_e32 v24, 0
	;; [unrolled: 1-line block ×5, first 2 shown]
	ds_read_b128 v[76:79], v66 offset:512
	ds_read_b128 v[80:83], v67 offset:16896
	v_dot4c_i32_i8_e32 v17, v72, v68
	v_dot4c_i32_i8_e32 v24, v72, v69
	;; [unrolled: 1-line block ×16, first 2 shown]
	ds_read_b128 v[68:71], v67 offset:17152
	ds_read_b128 v[72:75], v66 offset:768
	s_waitcnt lgkmcnt(2)
	v_dot4c_i32_i8_e32 v32, v76, v80
	v_dot4c_i32_i8_e32 v39, v76, v81
	;; [unrolled: 1-line block ×16, first 2 shown]
	s_waitcnt lgkmcnt(1)
	v_dot4c_i32_i8_e32 v48, v76, v68
	v_dot4c_i32_i8_e32 v53, v76, v69
	;; [unrolled: 1-line block ×16, first 2 shown]
	ds_read_b128 v[76:79], v66 offset:1024
	s_waitcnt lgkmcnt(1)
	v_dot4c_i32_i8_e32 v3, v72, v80
	v_dot4c_i32_i8_e32 v4, v72, v81
	;; [unrolled: 1-line block ×16, first 2 shown]
	ds_read_b128 v[80:83], v67 offset:17408
	v_dot4c_i32_i8_e32 v17, v72, v68
	v_dot4c_i32_i8_e32 v24, v72, v69
	;; [unrolled: 1-line block ×16, first 2 shown]
	ds_read_b128 v[68:71], v67 offset:17664
	ds_read_b128 v[72:75], v66 offset:1280
	s_waitcnt lgkmcnt(2)
	v_dot4c_i32_i8_e32 v32, v76, v80
	v_dot4c_i32_i8_e32 v39, v76, v81
	;; [unrolled: 1-line block ×16, first 2 shown]
	s_waitcnt lgkmcnt(1)
	v_dot4c_i32_i8_e32 v48, v76, v68
	v_dot4c_i32_i8_e32 v53, v76, v69
	v_dot4c_i32_i8_e32 v54, v76, v70
	v_dot4c_i32_i8_e32 v55, v76, v71
	v_dot4c_i32_i8_e32 v47, v77, v68
	v_dot4c_i32_i8_e32 v50, v77, v69
	v_dot4c_i32_i8_e32 v51, v77, v70
	v_dot4c_i32_i8_e32 v52, v77, v71
	v_dot4c_i32_i8_e32 v33, v78, v68
	v_dot4c_i32_i8_e32 v41, v78, v69
	v_dot4c_i32_i8_e32 v42, v78, v70
	v_dot4c_i32_i8_e32 v43, v78, v71
	v_dot4c_i32_i8_e32 v34, v79, v68
	v_dot4c_i32_i8_e32 v44, v79, v69
	v_dot4c_i32_i8_e32 v45, v79, v70
	v_dot4c_i32_i8_e32 v46, v79, v71
	ds_read_b128 v[76:79], v66 offset:1536
	s_waitcnt lgkmcnt(1)
	v_dot4c_i32_i8_e32 v3, v72, v80
	v_dot4c_i32_i8_e32 v4, v72, v81
	;; [unrolled: 1-line block ×16, first 2 shown]
	ds_read_b128 v[80:83], v67 offset:17920
	v_dot4c_i32_i8_e32 v17, v72, v68
	v_dot4c_i32_i8_e32 v24, v72, v69
	;; [unrolled: 1-line block ×16, first 2 shown]
	ds_read_b128 v[68:71], v67 offset:18176
	ds_read_b128 v[72:75], v66 offset:1792
	s_waitcnt lgkmcnt(2)
	v_dot4c_i32_i8_e32 v32, v76, v80
	v_dot4c_i32_i8_e32 v39, v76, v81
	;; [unrolled: 1-line block ×16, first 2 shown]
	s_waitcnt lgkmcnt(1)
	v_dot4c_i32_i8_e32 v48, v76, v68
	v_dot4c_i32_i8_e32 v53, v76, v69
	;; [unrolled: 1-line block ×16, first 2 shown]
	ds_read_b128 v[76:79], v66 offset:2048
	s_waitcnt lgkmcnt(1)
	v_dot4c_i32_i8_e32 v3, v72, v80
	v_dot4c_i32_i8_e32 v4, v72, v81
	;; [unrolled: 1-line block ×16, first 2 shown]
	ds_read_b128 v[80:83], v67 offset:18432
	v_dot4c_i32_i8_e32 v17, v72, v68
	v_dot4c_i32_i8_e32 v24, v72, v69
	;; [unrolled: 1-line block ×16, first 2 shown]
	ds_read_b128 v[68:71], v67 offset:18688
	ds_read_b128 v[72:75], v66 offset:2304
	s_waitcnt lgkmcnt(2)
	v_dot4c_i32_i8_e32 v32, v76, v80
	v_dot4c_i32_i8_e32 v39, v76, v81
	;; [unrolled: 1-line block ×16, first 2 shown]
	s_waitcnt lgkmcnt(1)
	v_dot4c_i32_i8_e32 v48, v76, v68
	v_dot4c_i32_i8_e32 v53, v76, v69
	;; [unrolled: 1-line block ×16, first 2 shown]
	ds_read_b128 v[76:79], v66 offset:2560
	s_waitcnt lgkmcnt(1)
	v_dot4c_i32_i8_e32 v3, v72, v80
	v_dot4c_i32_i8_e32 v4, v72, v81
	;; [unrolled: 1-line block ×16, first 2 shown]
	ds_read_b128 v[80:83], v67 offset:18944
	v_dot4c_i32_i8_e32 v17, v72, v68
	v_dot4c_i32_i8_e32 v24, v72, v69
	;; [unrolled: 1-line block ×16, first 2 shown]
	ds_read_b128 v[68:71], v67 offset:19200
	ds_read_b128 v[72:75], v66 offset:2816
	s_waitcnt lgkmcnt(2)
	v_dot4c_i32_i8_e32 v32, v76, v80
	v_dot4c_i32_i8_e32 v39, v76, v81
	;; [unrolled: 1-line block ×16, first 2 shown]
	s_waitcnt lgkmcnt(1)
	v_dot4c_i32_i8_e32 v48, v76, v68
	v_dot4c_i32_i8_e32 v53, v76, v69
	;; [unrolled: 1-line block ×16, first 2 shown]
	ds_read_b128 v[76:79], v66 offset:3072
	s_waitcnt lgkmcnt(1)
	v_dot4c_i32_i8_e32 v3, v72, v80
	v_dot4c_i32_i8_e32 v4, v72, v81
	;; [unrolled: 1-line block ×16, first 2 shown]
	ds_read_b128 v[80:83], v67 offset:19456
	v_dot4c_i32_i8_e32 v17, v72, v68
	v_dot4c_i32_i8_e32 v24, v72, v69
	;; [unrolled: 1-line block ×16, first 2 shown]
	ds_read_b128 v[68:71], v67 offset:19712
	ds_read_b128 v[72:75], v66 offset:3328
	s_waitcnt lgkmcnt(2)
	v_dot4c_i32_i8_e32 v32, v76, v80
	v_dot4c_i32_i8_e32 v39, v76, v81
	;; [unrolled: 1-line block ×16, first 2 shown]
	s_waitcnt lgkmcnt(1)
	v_dot4c_i32_i8_e32 v48, v76, v68
	v_dot4c_i32_i8_e32 v53, v76, v69
	;; [unrolled: 1-line block ×16, first 2 shown]
	ds_read_b128 v[76:79], v66 offset:3584
	s_waitcnt lgkmcnt(1)
	v_dot4c_i32_i8_e32 v3, v72, v80
	v_dot4c_i32_i8_e32 v4, v72, v81
	;; [unrolled: 1-line block ×16, first 2 shown]
	ds_read_b128 v[80:83], v67 offset:19968
	v_dot4c_i32_i8_e32 v17, v72, v68
	v_dot4c_i32_i8_e32 v24, v72, v69
	;; [unrolled: 1-line block ×16, first 2 shown]
	ds_read_b128 v[68:71], v67 offset:20224
	ds_read_b128 v[72:75], v66 offset:3840
	s_waitcnt lgkmcnt(2)
	v_dot4c_i32_i8_e32 v32, v76, v80
	v_dot4c_i32_i8_e32 v39, v76, v81
	;; [unrolled: 1-line block ×16, first 2 shown]
	s_waitcnt lgkmcnt(1)
	v_dot4c_i32_i8_e32 v48, v76, v68
	v_dot4c_i32_i8_e32 v53, v76, v69
	;; [unrolled: 1-line block ×16, first 2 shown]
	ds_read_b128 v[76:79], v66 offset:4096
	s_waitcnt lgkmcnt(1)
	v_dot4c_i32_i8_e32 v3, v72, v80
	v_dot4c_i32_i8_e32 v4, v72, v81
	;; [unrolled: 1-line block ×16, first 2 shown]
	ds_read_b128 v[80:83], v67 offset:20480
	v_dot4c_i32_i8_e32 v17, v72, v68
	v_dot4c_i32_i8_e32 v24, v72, v69
	;; [unrolled: 1-line block ×16, first 2 shown]
	ds_read_b128 v[68:71], v67 offset:20736
	ds_read_b128 v[72:75], v66 offset:4352
	s_waitcnt lgkmcnt(2)
	v_dot4c_i32_i8_e32 v32, v76, v80
	v_dot4c_i32_i8_e32 v39, v76, v81
	;; [unrolled: 1-line block ×16, first 2 shown]
	s_waitcnt lgkmcnt(1)
	v_dot4c_i32_i8_e32 v48, v76, v68
	v_dot4c_i32_i8_e32 v53, v76, v69
	;; [unrolled: 1-line block ×16, first 2 shown]
	ds_read_b128 v[76:79], v66 offset:4608
	s_waitcnt lgkmcnt(1)
	v_dot4c_i32_i8_e32 v3, v72, v80
	v_dot4c_i32_i8_e32 v4, v72, v81
	;; [unrolled: 1-line block ×16, first 2 shown]
	ds_read_b128 v[80:83], v67 offset:20992
	v_dot4c_i32_i8_e32 v17, v72, v68
	v_dot4c_i32_i8_e32 v24, v72, v69
	v_dot4c_i32_i8_e32 v25, v72, v70
	v_dot4c_i32_i8_e32 v26, v72, v71
	v_dot4c_i32_i8_e32 v31, v73, v68
	v_dot4c_i32_i8_e32 v35, v73, v69
	v_dot4c_i32_i8_e32 v36, v73, v70
	v_dot4c_i32_i8_e32 v37, v73, v71
	v_dot4c_i32_i8_e32 v59, v74, v68
	v_dot4c_i32_i8_e32 v60, v74, v69
	v_dot4c_i32_i8_e32 v61, v74, v70
	v_dot4c_i32_i8_e32 v62, v74, v71
	v_dot4c_i32_i8_e32 v63, v75, v68
	v_dot4c_i32_i8_e32 v64, v75, v69
	v_dot4c_i32_i8_e32 v65, v75, v70
	v_dot4c_i32_i8_e32 v0, v75, v71
	ds_read_b128 v[68:71], v67 offset:21248
	ds_read_b128 v[72:75], v66 offset:4864
	s_waitcnt lgkmcnt(2)
	v_dot4c_i32_i8_e32 v32, v76, v80
	v_dot4c_i32_i8_e32 v39, v76, v81
	;; [unrolled: 1-line block ×16, first 2 shown]
	s_waitcnt lgkmcnt(1)
	v_dot4c_i32_i8_e32 v48, v76, v68
	v_dot4c_i32_i8_e32 v53, v76, v69
	;; [unrolled: 1-line block ×16, first 2 shown]
	ds_read_b128 v[76:79], v66 offset:5120
	s_waitcnt lgkmcnt(1)
	v_dot4c_i32_i8_e32 v3, v72, v80
	v_dot4c_i32_i8_e32 v4, v72, v81
	;; [unrolled: 1-line block ×16, first 2 shown]
	ds_read_b128 v[80:83], v67 offset:21504
	v_dot4c_i32_i8_e32 v17, v72, v68
	v_dot4c_i32_i8_e32 v24, v72, v69
	;; [unrolled: 1-line block ×16, first 2 shown]
	ds_read_b128 v[68:71], v67 offset:21760
	ds_read_b128 v[72:75], v66 offset:5376
	s_waitcnt lgkmcnt(2)
	v_dot4c_i32_i8_e32 v32, v76, v80
	v_dot4c_i32_i8_e32 v39, v76, v81
	;; [unrolled: 1-line block ×16, first 2 shown]
	s_waitcnt lgkmcnt(1)
	v_dot4c_i32_i8_e32 v48, v76, v68
	v_dot4c_i32_i8_e32 v53, v76, v69
	;; [unrolled: 1-line block ×16, first 2 shown]
	ds_read_b128 v[76:79], v66 offset:5632
	s_waitcnt lgkmcnt(1)
	v_dot4c_i32_i8_e32 v3, v72, v80
	v_dot4c_i32_i8_e32 v4, v72, v81
	v_dot4c_i32_i8_e32 v5, v72, v82
	v_dot4c_i32_i8_e32 v6, v72, v83
	v_dot4c_i32_i8_e32 v11, v73, v80
	v_dot4c_i32_i8_e32 v12, v73, v81
	v_dot4c_i32_i8_e32 v13, v73, v82
	v_dot4c_i32_i8_e32 v14, v73, v83
	v_dot4c_i32_i8_e32 v27, v74, v80
	v_dot4c_i32_i8_e32 v28, v74, v81
	v_dot4c_i32_i8_e32 v29, v74, v82
	v_dot4c_i32_i8_e32 v30, v74, v83
	v_dot4c_i32_i8_e32 v49, v75, v80
	v_dot4c_i32_i8_e32 v56, v75, v81
	v_dot4c_i32_i8_e32 v57, v75, v82
	v_dot4c_i32_i8_e32 v58, v75, v83
	ds_read_b128 v[80:83], v67 offset:22016
	v_dot4c_i32_i8_e32 v17, v72, v68
	v_dot4c_i32_i8_e32 v24, v72, v69
	;; [unrolled: 1-line block ×16, first 2 shown]
	ds_read_b128 v[68:71], v67 offset:22272
	ds_read_b128 v[72:75], v66 offset:5888
	s_waitcnt lgkmcnt(2)
	v_dot4c_i32_i8_e32 v32, v76, v80
	v_dot4c_i32_i8_e32 v39, v76, v81
	;; [unrolled: 1-line block ×16, first 2 shown]
	s_waitcnt lgkmcnt(1)
	v_dot4c_i32_i8_e32 v48, v76, v68
	v_dot4c_i32_i8_e32 v53, v76, v69
	;; [unrolled: 1-line block ×16, first 2 shown]
	ds_read_b128 v[76:79], v66 offset:6144
	s_waitcnt lgkmcnt(1)
	v_dot4c_i32_i8_e32 v3, v72, v80
	v_dot4c_i32_i8_e32 v4, v72, v81
	;; [unrolled: 1-line block ×16, first 2 shown]
	ds_read_b128 v[80:83], v67 offset:22528
	v_dot4c_i32_i8_e32 v17, v72, v68
	v_dot4c_i32_i8_e32 v24, v72, v69
	;; [unrolled: 1-line block ×16, first 2 shown]
	ds_read_b128 v[68:71], v67 offset:22784
	ds_read_b128 v[72:75], v66 offset:6400
	s_waitcnt lgkmcnt(2)
	v_dot4c_i32_i8_e32 v32, v76, v80
	v_dot4c_i32_i8_e32 v39, v76, v81
	;; [unrolled: 1-line block ×16, first 2 shown]
	s_waitcnt lgkmcnt(1)
	v_dot4c_i32_i8_e32 v48, v76, v68
	v_dot4c_i32_i8_e32 v53, v76, v69
	;; [unrolled: 1-line block ×16, first 2 shown]
	ds_read_b128 v[76:79], v66 offset:6656
	s_waitcnt lgkmcnt(1)
	v_dot4c_i32_i8_e32 v3, v72, v80
	v_dot4c_i32_i8_e32 v4, v72, v81
	;; [unrolled: 1-line block ×16, first 2 shown]
	ds_read_b128 v[80:83], v67 offset:23040
	v_dot4c_i32_i8_e32 v17, v72, v68
	v_dot4c_i32_i8_e32 v24, v72, v69
	;; [unrolled: 1-line block ×16, first 2 shown]
	ds_read_b128 v[68:71], v67 offset:23296
	ds_read_b128 v[72:75], v66 offset:6912
	s_waitcnt lgkmcnt(2)
	v_dot4c_i32_i8_e32 v32, v76, v80
	v_dot4c_i32_i8_e32 v39, v76, v81
	;; [unrolled: 1-line block ×16, first 2 shown]
	s_waitcnt lgkmcnt(1)
	v_dot4c_i32_i8_e32 v48, v76, v68
	v_dot4c_i32_i8_e32 v53, v76, v69
	;; [unrolled: 1-line block ×16, first 2 shown]
	ds_read_b128 v[76:79], v66 offset:7168
	s_waitcnt lgkmcnt(1)
	v_dot4c_i32_i8_e32 v3, v72, v80
	v_dot4c_i32_i8_e32 v4, v72, v81
	;; [unrolled: 1-line block ×16, first 2 shown]
	ds_read_b128 v[80:83], v67 offset:23552
	v_dot4c_i32_i8_e32 v17, v72, v68
	v_dot4c_i32_i8_e32 v24, v72, v69
	;; [unrolled: 1-line block ×16, first 2 shown]
	ds_read_b128 v[68:71], v67 offset:23808
	ds_read_b128 v[72:75], v66 offset:7424
	s_waitcnt lgkmcnt(2)
	v_dot4c_i32_i8_e32 v32, v76, v80
	v_dot4c_i32_i8_e32 v39, v76, v81
	;; [unrolled: 1-line block ×16, first 2 shown]
	s_waitcnt lgkmcnt(1)
	v_dot4c_i32_i8_e32 v48, v76, v68
	v_dot4c_i32_i8_e32 v53, v76, v69
	v_dot4c_i32_i8_e32 v54, v76, v70
	v_dot4c_i32_i8_e32 v55, v76, v71
	v_dot4c_i32_i8_e32 v47, v77, v68
	v_dot4c_i32_i8_e32 v50, v77, v69
	v_dot4c_i32_i8_e32 v51, v77, v70
	v_dot4c_i32_i8_e32 v52, v77, v71
	v_dot4c_i32_i8_e32 v33, v78, v68
	v_dot4c_i32_i8_e32 v41, v78, v69
	v_dot4c_i32_i8_e32 v42, v78, v70
	v_dot4c_i32_i8_e32 v43, v78, v71
	v_dot4c_i32_i8_e32 v34, v79, v68
	v_dot4c_i32_i8_e32 v44, v79, v69
	v_dot4c_i32_i8_e32 v45, v79, v70
	v_dot4c_i32_i8_e32 v46, v79, v71
	ds_read_b128 v[76:79], v66 offset:7680
	s_waitcnt lgkmcnt(1)
	v_dot4c_i32_i8_e32 v3, v72, v80
	v_dot4c_i32_i8_e32 v4, v72, v81
	;; [unrolled: 1-line block ×16, first 2 shown]
	ds_read_b128 v[80:83], v67 offset:24064
	v_dot4c_i32_i8_e32 v17, v72, v68
	v_dot4c_i32_i8_e32 v24, v72, v69
	;; [unrolled: 1-line block ×16, first 2 shown]
	ds_read_b128 v[68:71], v67 offset:24320
	ds_read_b128 v[72:75], v66 offset:7936
	v_or_b32_e32 v2, s0, v2
	s_waitcnt lgkmcnt(2)
	v_dot4c_i32_i8_e32 v39, v76, v81
	v_dot4c_i32_i8_e32 v40, v76, v82
	v_mul_lo_u32 v2, v2, s3
	v_dot4c_i32_i8_e32 v32, v76, v80
	v_dot4c_i32_i8_e32 v38, v76, v83
	v_add3_u32 v1, s1, v1, v2
	v_lshlrev_b32_e32 v2, 8, v39
	v_lshlrev_b32_e32 v39, 16, v40
	s_mov_b32 s0, 0x40c0c00
	v_and_b32_e32 v2, 0xff00, v2
	v_and_b32_e32 v39, 0xff0000, v39
	v_perm_b32 v32, v38, v32, s0
	s_waitcnt lgkmcnt(1)
	v_dot4c_i32_i8_e32 v53, v76, v69
	v_dot4c_i32_i8_e32 v54, v76, v70
	v_or3_b32 v2, v32, v2, v39
	s_and_b32 s13, s13, 0xffff
	s_mov_b32 s15, s19
	v_dot4c_i32_i8_e32 v48, v76, v68
	v_dot4c_i32_i8_e32 v55, v76, v71
	buffer_store_dword v2, v1, s[12:15], 0 offen
	v_lshlrev_b32_e32 v2, 8, v53
	v_lshlrev_b32_e32 v32, 16, v54
	v_dot4c_i32_i8_e32 v50, v77, v69
	v_dot4c_i32_i8_e32 v51, v77, v70
	v_and_b32_e32 v2, 0xff00, v2
	v_and_b32_e32 v32, 0xff0000, v32
	v_perm_b32 v38, v55, v48, s0
	v_dot4c_i32_i8_e32 v47, v77, v68
	v_dot4c_i32_i8_e32 v52, v77, v71
	v_or3_b32 v2, v38, v2, v32
	v_lshlrev_b32_e32 v32, 8, v50
	v_lshlrev_b32_e32 v38, 16, v51
	buffer_store_dword v2, v1, s[12:15], 0 offen offset:64
	v_add_u32_e32 v1, s3, v1
	v_and_b32_e32 v32, 0xff00, v32
	v_and_b32_e32 v38, 0xff0000, v38
	v_perm_b32 v39, v52, v47, s0
	v_dot4c_i32_i8_e32 v18, v77, v81
	v_dot4c_i32_i8_e32 v19, v77, v82
	v_add_u32_e32 v2, 64, v1
	v_or3_b32 v32, v39, v32, v38
	v_dot4c_i32_i8_e32 v15, v77, v80
	v_dot4c_i32_i8_e32 v20, v77, v83
	buffer_store_dword v32, v2, s[12:15], 0 offen
	v_lshlrev_b32_e32 v2, 8, v18
	v_lshlrev_b32_e32 v18, 16, v19
	v_and_b32_e32 v2, 0xff00, v2
	v_and_b32_e32 v18, 0xff0000, v18
	v_perm_b32 v15, v20, v15, s0
	v_dot4c_i32_i8_e32 v21, v78, v81
	v_dot4c_i32_i8_e32 v22, v78, v82
	v_or3_b32 v2, v15, v2, v18
	v_dot4c_i32_i8_e32 v16, v78, v80
	v_dot4c_i32_i8_e32 v23, v78, v83
	buffer_store_dword v2, v1, s[12:15], 0 offen
	v_lshlrev_b32_e32 v2, 8, v21
	v_lshlrev_b32_e32 v15, 16, v22
	v_dot4c_i32_i8_e32 v41, v78, v69
	v_dot4c_i32_i8_e32 v42, v78, v70
	v_and_b32_e32 v2, 0xff00, v2
	v_and_b32_e32 v15, 0xff0000, v15
	v_perm_b32 v16, v23, v16, s0
	v_dot4c_i32_i8_e32 v33, v78, v68
	v_dot4c_i32_i8_e32 v43, v78, v71
	v_or3_b32 v2, v16, v2, v15
	v_lshlrev_b32_e32 v15, 8, v41
	v_lshlrev_b32_e32 v16, 16, v42
	v_dot4c_i32_i8_e32 v8, v79, v81
	v_dot4c_i32_i8_e32 v9, v79, v82
	;; [unrolled: 1-line block ×4, first 2 shown]
	v_and_b32_e32 v15, 0xff00, v15
	v_and_b32_e32 v16, 0xff0000, v16
	v_perm_b32 v18, v43, v33, s0
	v_dot4c_i32_i8_e32 v7, v79, v80
	v_dot4c_i32_i8_e32 v10, v79, v83
	;; [unrolled: 1-line block ×4, first 2 shown]
	v_add_u32_e32 v1, s3, v1
	v_or3_b32 v15, v18, v15, v16
	v_lshlrev_b32_e32 v16, 8, v44
	v_lshlrev_b32_e32 v18, 16, v45
	;; [unrolled: 1-line block ×4, first 2 shown]
	buffer_store_dword v2, v1, s[12:15], 0 offen
	v_add_u32_e32 v2, 64, v1
	v_and_b32_e32 v16, 0xff00, v16
	v_and_b32_e32 v18, 0xff0000, v18
	v_perm_b32 v19, v46, v34, s0
	v_and_b32_e32 v8, 0xff00, v8
	v_and_b32_e32 v9, 0xff0000, v9
	v_perm_b32 v7, v10, v7, s0
	s_waitcnt lgkmcnt(0)
	v_dot4c_i32_i8_e32 v56, v75, v81
	v_dot4c_i32_i8_e32 v57, v75, v82
	buffer_store_dword v15, v1, s[12:15], 0 offen offset:64
	v_add_u32_e32 v15, s3, v2
	v_or3_b32 v16, v19, v16, v18
	v_add_u32_e32 v1, s3, v1
	v_or3_b32 v7, v7, v8, v9
	v_dot4c_i32_i8_e32 v49, v75, v80
	v_dot4c_i32_i8_e32 v58, v75, v83
	buffer_store_dword v16, v15, s[12:15], 0 offen
	buffer_store_dword v7, v1, s[12:15], 0 offen
	v_lshlrev_b32_e32 v7, 8, v56
	v_lshlrev_b32_e32 v8, 16, v57
	s_lshl_b32 s1, s3, 6
	v_and_b32_e32 v7, 0xff00, v7
	v_and_b32_e32 v8, 0xff0000, v8
	v_perm_b32 v9, v58, v49, s0
	v_dot4c_i32_i8_e32 v64, v75, v69
	v_dot4c_i32_i8_e32 v65, v75, v70
	v_add_u32_e32 v1, s1, v1
	v_or3_b32 v7, v9, v7, v8
	v_dot4c_i32_i8_e32 v63, v75, v68
	v_dot4c_i32_i8_e32 v0, v75, v71
	buffer_store_dword v7, v1, s[12:15], 0 offen
	v_lshlrev_b32_e32 v7, 8, v64
	v_lshlrev_b32_e32 v8, 16, v65
	v_and_b32_e32 v7, 0xff00, v7
	v_and_b32_e32 v8, 0xff0000, v8
	v_perm_b32 v0, v0, v63, s0
	v_dot4c_i32_i8_e32 v60, v74, v69
	v_dot4c_i32_i8_e32 v61, v74, v70
	v_or3_b32 v0, v0, v7, v8
	v_dot4c_i32_i8_e32 v59, v74, v68
	v_dot4c_i32_i8_e32 v62, v74, v71
	buffer_store_dword v0, v1, s[12:15], 0 offen offset:64
	v_add_u32_e32 v0, s1, v2
	v_lshlrev_b32_e32 v1, 8, v60
	v_lshlrev_b32_e32 v2, 16, v61
	v_and_b32_e32 v1, 0xff00, v1
	v_and_b32_e32 v2, 0xff0000, v2
	v_perm_b32 v7, v62, v59, s0
	v_dot4c_i32_i8_e32 v28, v74, v81
	v_dot4c_i32_i8_e32 v29, v74, v82
	v_or3_b32 v1, v7, v1, v2
	v_dot4c_i32_i8_e32 v27, v74, v80
	v_dot4c_i32_i8_e32 v30, v74, v83
	buffer_store_dword v1, v0, s[12:15], 0 offen
	v_lshlrev_b32_e32 v1, 8, v28
	v_lshlrev_b32_e32 v2, 16, v29
	v_and_b32_e32 v1, 0xff00, v1
	v_and_b32_e32 v2, 0xff0000, v2
	v_perm_b32 v7, v30, v27, s0
	v_dot4c_i32_i8_e32 v12, v73, v81
	v_dot4c_i32_i8_e32 v13, v73, v82
	v_subrev_u32_e32 v0, 64, v0
	v_or3_b32 v1, v7, v1, v2
	v_dot4c_i32_i8_e32 v11, v73, v80
	v_dot4c_i32_i8_e32 v14, v73, v83
	buffer_store_dword v1, v0, s[12:15], 0 offen
	v_lshlrev_b32_e32 v1, 8, v12
	v_lshlrev_b32_e32 v2, 16, v13
	v_and_b32_e32 v1, 0xff00, v1
	v_and_b32_e32 v2, 0xff0000, v2
	v_perm_b32 v7, v14, v11, s0
	v_dot4c_i32_i8_e32 v35, v73, v69
	v_dot4c_i32_i8_e32 v36, v73, v70
	v_subrev_u32_e32 v0, s3, v0
	v_or3_b32 v1, v7, v1, v2
	v_dot4c_i32_i8_e32 v31, v73, v68
	v_dot4c_i32_i8_e32 v37, v73, v71
	buffer_store_dword v1, v0, s[12:15], 0 offen
	v_lshlrev_b32_e32 v1, 8, v35
	v_lshlrev_b32_e32 v2, 16, v36
	v_dot4c_i32_i8_e32 v24, v72, v69
	v_dot4c_i32_i8_e32 v25, v72, v70
	v_and_b32_e32 v1, 0xff00, v1
	v_and_b32_e32 v2, 0xff0000, v2
	v_perm_b32 v7, v37, v31, s0
	v_dot4c_i32_i8_e32 v17, v72, v68
	v_dot4c_i32_i8_e32 v26, v72, v71
	v_or3_b32 v1, v7, v1, v2
	v_lshlrev_b32_e32 v2, 8, v24
	v_lshlrev_b32_e32 v7, 16, v25
	buffer_store_dword v1, v0, s[12:15], 0 offen offset:64
	v_subrev_u32_e32 v0, s3, v0
	v_and_b32_e32 v2, 0xff00, v2
	v_and_b32_e32 v7, 0xff0000, v7
	v_perm_b32 v8, v26, v17, s0
	v_dot4c_i32_i8_e32 v4, v72, v81
	v_dot4c_i32_i8_e32 v5, v72, v82
	v_add_u32_e32 v1, 64, v0
	v_or3_b32 v2, v8, v2, v7
	v_dot4c_i32_i8_e32 v3, v72, v80
	v_dot4c_i32_i8_e32 v6, v72, v83
	buffer_store_dword v2, v1, s[12:15], 0 offen
	v_lshlrev_b32_e32 v1, 8, v4
	v_lshlrev_b32_e32 v2, 16, v5
	v_and_b32_e32 v1, 0xff00, v1
	v_and_b32_e32 v2, 0xff0000, v2
	v_perm_b32 v3, v6, v3, s0
	v_or3_b32 v1, v3, v1, v2
	buffer_store_dword v1, v0, s[12:15], 0 offen
	s_endpgm
	.section	.rodata,"a",@progbits
	.p2align	6, 0x0
	.amdhsa_kernel _ZN2ck19kernel_gemm_dl_v1r3INS_28GridwiseGemmDl_km_kn_mn_v1r3ILi256EaiaLNS_25InMemoryDataOperationEnumE0ENS_16TensorDescriptorINS_5TupleIJNS_5EmbedINS4_IJiiEEENS4_IJNS_17integral_constantIiLi1EEEiEEELb0EEENS_7UnMergeINS4_IJiNS7_IiLi4EEEEEELb0EEENS_11PassThroughIiEEEEENS4_IJNS_8SequenceIJLi0EEEENSI_IJLi2EEEENSI_IJLi1EEEEEEENS4_IJNSI_IJLi1ELi2EEEENSI_IJLi3ELi4EEEENSI_IJLi5EEEEEEENSI_IJLi3ELi5ELi4EEEElEENS3_INS4_IJNS5_IS6_NS4_IJiS8_EEELb0EEESE_SG_EEENS4_IJSJ_SL_SK_EEESQ_SR_lEENS3_INS4_IJSU_SG_SG_EEESW_NS4_IJSN_NSI_IJLi3EEEENSI_IJLi4EEEEEEESO_lEELi128ELi128ELi16ELi4ELi4ELi4ELi1ENSI_IJLi8ELi2EEEES13_NSI_IJLi2ELi1ELi4ELi4EEEENSI_IJLi8ELi1ELi32ELi1EEEENSI_IJLi0ELi3ELi1ELi2EEEES16_NSI_IJLi1ELi1ELi4ELi1EEEES16_NSI_IJLi1ELi1ELi4ELi4EEEES14_S15_S16_S16_S17_S16_S18_NSI_IJLi0ELi1ELi2ELi3ELi4ELi5EEEELi5ELi4EEEaaNS3_INS4_IJSA_SE_SG_SG_NSB_INS4_IJiNS7_IiLi128EEEEEELb0EEENSF_ISC_EEEEENS4_IJSJ_SK_SL_SZ_SP_S10_EEENS4_IJSN_SO_SP_NSI_IJLi6EEEENSI_IJLi7ELi8EEEENSI_IJLi9EEEEEEENSI_IJLi6ELi7ELi8ELi9EEEElEENS3_INS4_IJSU_SE_SG_SG_S1D_S1E_EEENS4_IJSJ_SL_SK_SZ_SP_S10_EEES1K_S1L_lEENS3_INS4_IJSU_SG_SG_NSB_INS4_IJiNS7_IiLi2EEENS7_IiLi64EEEEEELb0EEES1T_EEENS4_IJSJ_SL_SK_SZ_S10_EEENS4_IJSN_SZ_S10_NSI_IJLi5ELi6ELi7EEEENSI_IJLi8ELi9ELi10EEEEEEENSI_IJLi5ELi6ELi7ELi8ELi9ELi10EEEElEENS_31BlockToCTileMap_M00_N00_M01_N01ILi128ELi128ES12_Lb0EEELb0ELb0EEEvPKT0_S25_PT1_T2_T3_T4_T5_
		.amdhsa_group_segment_fixed_size 32768
		.amdhsa_private_segment_fixed_size 0
		.amdhsa_kernarg_size 328
		.amdhsa_user_sgpr_count 2
		.amdhsa_user_sgpr_dispatch_ptr 0
		.amdhsa_user_sgpr_queue_ptr 0
		.amdhsa_user_sgpr_kernarg_segment_ptr 1
		.amdhsa_user_sgpr_dispatch_id 0
		.amdhsa_user_sgpr_kernarg_preload_length 0
		.amdhsa_user_sgpr_kernarg_preload_offset 0
		.amdhsa_user_sgpr_private_segment_size 0
		.amdhsa_uses_dynamic_stack 0
		.amdhsa_enable_private_segment 0
		.amdhsa_system_sgpr_workgroup_id_x 1
		.amdhsa_system_sgpr_workgroup_id_y 0
		.amdhsa_system_sgpr_workgroup_id_z 0
		.amdhsa_system_sgpr_workgroup_info 0
		.amdhsa_system_vgpr_workitem_id 0
		.amdhsa_next_free_vgpr 84
		.amdhsa_next_free_sgpr 96
		.amdhsa_accum_offset 84
		.amdhsa_reserve_vcc 0
		.amdhsa_float_round_mode_32 0
		.amdhsa_float_round_mode_16_64 0
		.amdhsa_float_denorm_mode_32 3
		.amdhsa_float_denorm_mode_16_64 3
		.amdhsa_dx10_clamp 1
		.amdhsa_ieee_mode 1
		.amdhsa_fp16_overflow 0
		.amdhsa_tg_split 0
		.amdhsa_exception_fp_ieee_invalid_op 0
		.amdhsa_exception_fp_denorm_src 0
		.amdhsa_exception_fp_ieee_div_zero 0
		.amdhsa_exception_fp_ieee_overflow 0
		.amdhsa_exception_fp_ieee_underflow 0
		.amdhsa_exception_fp_ieee_inexact 0
		.amdhsa_exception_int_div_zero 0
	.end_amdhsa_kernel
	.section	.text._ZN2ck19kernel_gemm_dl_v1r3INS_28GridwiseGemmDl_km_kn_mn_v1r3ILi256EaiaLNS_25InMemoryDataOperationEnumE0ENS_16TensorDescriptorINS_5TupleIJNS_5EmbedINS4_IJiiEEENS4_IJNS_17integral_constantIiLi1EEEiEEELb0EEENS_7UnMergeINS4_IJiNS7_IiLi4EEEEEELb0EEENS_11PassThroughIiEEEEENS4_IJNS_8SequenceIJLi0EEEENSI_IJLi2EEEENSI_IJLi1EEEEEEENS4_IJNSI_IJLi1ELi2EEEENSI_IJLi3ELi4EEEENSI_IJLi5EEEEEEENSI_IJLi3ELi5ELi4EEEElEENS3_INS4_IJNS5_IS6_NS4_IJiS8_EEELb0EEESE_SG_EEENS4_IJSJ_SL_SK_EEESQ_SR_lEENS3_INS4_IJSU_SG_SG_EEESW_NS4_IJSN_NSI_IJLi3EEEENSI_IJLi4EEEEEEESO_lEELi128ELi128ELi16ELi4ELi4ELi4ELi1ENSI_IJLi8ELi2EEEES13_NSI_IJLi2ELi1ELi4ELi4EEEENSI_IJLi8ELi1ELi32ELi1EEEENSI_IJLi0ELi3ELi1ELi2EEEES16_NSI_IJLi1ELi1ELi4ELi1EEEES16_NSI_IJLi1ELi1ELi4ELi4EEEES14_S15_S16_S16_S17_S16_S18_NSI_IJLi0ELi1ELi2ELi3ELi4ELi5EEEELi5ELi4EEEaaNS3_INS4_IJSA_SE_SG_SG_NSB_INS4_IJiNS7_IiLi128EEEEEELb0EEENSF_ISC_EEEEENS4_IJSJ_SK_SL_SZ_SP_S10_EEENS4_IJSN_SO_SP_NSI_IJLi6EEEENSI_IJLi7ELi8EEEENSI_IJLi9EEEEEEENSI_IJLi6ELi7ELi8ELi9EEEElEENS3_INS4_IJSU_SE_SG_SG_S1D_S1E_EEENS4_IJSJ_SL_SK_SZ_SP_S10_EEES1K_S1L_lEENS3_INS4_IJSU_SG_SG_NSB_INS4_IJiNS7_IiLi2EEENS7_IiLi64EEEEEELb0EEES1T_EEENS4_IJSJ_SL_SK_SZ_S10_EEENS4_IJSN_SZ_S10_NSI_IJLi5ELi6ELi7EEEENSI_IJLi8ELi9ELi10EEEEEEENSI_IJLi5ELi6ELi7ELi8ELi9ELi10EEEElEENS_31BlockToCTileMap_M00_N00_M01_N01ILi128ELi128ES12_Lb0EEELb0ELb0EEEvPKT0_S25_PT1_T2_T3_T4_T5_,"axG",@progbits,_ZN2ck19kernel_gemm_dl_v1r3INS_28GridwiseGemmDl_km_kn_mn_v1r3ILi256EaiaLNS_25InMemoryDataOperationEnumE0ENS_16TensorDescriptorINS_5TupleIJNS_5EmbedINS4_IJiiEEENS4_IJNS_17integral_constantIiLi1EEEiEEELb0EEENS_7UnMergeINS4_IJiNS7_IiLi4EEEEEELb0EEENS_11PassThroughIiEEEEENS4_IJNS_8SequenceIJLi0EEEENSI_IJLi2EEEENSI_IJLi1EEEEEEENS4_IJNSI_IJLi1ELi2EEEENSI_IJLi3ELi4EEEENSI_IJLi5EEEEEEENSI_IJLi3ELi5ELi4EEEElEENS3_INS4_IJNS5_IS6_NS4_IJiS8_EEELb0EEESE_SG_EEENS4_IJSJ_SL_SK_EEESQ_SR_lEENS3_INS4_IJSU_SG_SG_EEESW_NS4_IJSN_NSI_IJLi3EEEENSI_IJLi4EEEEEEESO_lEELi128ELi128ELi16ELi4ELi4ELi4ELi1ENSI_IJLi8ELi2EEEES13_NSI_IJLi2ELi1ELi4ELi4EEEENSI_IJLi8ELi1ELi32ELi1EEEENSI_IJLi0ELi3ELi1ELi2EEEES16_NSI_IJLi1ELi1ELi4ELi1EEEES16_NSI_IJLi1ELi1ELi4ELi4EEEES14_S15_S16_S16_S17_S16_S18_NSI_IJLi0ELi1ELi2ELi3ELi4ELi5EEEELi5ELi4EEEaaNS3_INS4_IJSA_SE_SG_SG_NSB_INS4_IJiNS7_IiLi128EEEEEELb0EEENSF_ISC_EEEEENS4_IJSJ_SK_SL_SZ_SP_S10_EEENS4_IJSN_SO_SP_NSI_IJLi6EEEENSI_IJLi7ELi8EEEENSI_IJLi9EEEEEEENSI_IJLi6ELi7ELi8ELi9EEEElEENS3_INS4_IJSU_SE_SG_SG_S1D_S1E_EEENS4_IJSJ_SL_SK_SZ_SP_S10_EEES1K_S1L_lEENS3_INS4_IJSU_SG_SG_NSB_INS4_IJiNS7_IiLi2EEENS7_IiLi64EEEEEELb0EEES1T_EEENS4_IJSJ_SL_SK_SZ_S10_EEENS4_IJSN_SZ_S10_NSI_IJLi5ELi6ELi7EEEENSI_IJLi8ELi9ELi10EEEEEEENSI_IJLi5ELi6ELi7ELi8ELi9ELi10EEEElEENS_31BlockToCTileMap_M00_N00_M01_N01ILi128ELi128ES12_Lb0EEELb0ELb0EEEvPKT0_S25_PT1_T2_T3_T4_T5_,comdat
.Lfunc_end4:
	.size	_ZN2ck19kernel_gemm_dl_v1r3INS_28GridwiseGemmDl_km_kn_mn_v1r3ILi256EaiaLNS_25InMemoryDataOperationEnumE0ENS_16TensorDescriptorINS_5TupleIJNS_5EmbedINS4_IJiiEEENS4_IJNS_17integral_constantIiLi1EEEiEEELb0EEENS_7UnMergeINS4_IJiNS7_IiLi4EEEEEELb0EEENS_11PassThroughIiEEEEENS4_IJNS_8SequenceIJLi0EEEENSI_IJLi2EEEENSI_IJLi1EEEEEEENS4_IJNSI_IJLi1ELi2EEEENSI_IJLi3ELi4EEEENSI_IJLi5EEEEEEENSI_IJLi3ELi5ELi4EEEElEENS3_INS4_IJNS5_IS6_NS4_IJiS8_EEELb0EEESE_SG_EEENS4_IJSJ_SL_SK_EEESQ_SR_lEENS3_INS4_IJSU_SG_SG_EEESW_NS4_IJSN_NSI_IJLi3EEEENSI_IJLi4EEEEEEESO_lEELi128ELi128ELi16ELi4ELi4ELi4ELi1ENSI_IJLi8ELi2EEEES13_NSI_IJLi2ELi1ELi4ELi4EEEENSI_IJLi8ELi1ELi32ELi1EEEENSI_IJLi0ELi3ELi1ELi2EEEES16_NSI_IJLi1ELi1ELi4ELi1EEEES16_NSI_IJLi1ELi1ELi4ELi4EEEES14_S15_S16_S16_S17_S16_S18_NSI_IJLi0ELi1ELi2ELi3ELi4ELi5EEEELi5ELi4EEEaaNS3_INS4_IJSA_SE_SG_SG_NSB_INS4_IJiNS7_IiLi128EEEEEELb0EEENSF_ISC_EEEEENS4_IJSJ_SK_SL_SZ_SP_S10_EEENS4_IJSN_SO_SP_NSI_IJLi6EEEENSI_IJLi7ELi8EEEENSI_IJLi9EEEEEEENSI_IJLi6ELi7ELi8ELi9EEEElEENS3_INS4_IJSU_SE_SG_SG_S1D_S1E_EEENS4_IJSJ_SL_SK_SZ_SP_S10_EEES1K_S1L_lEENS3_INS4_IJSU_SG_SG_NSB_INS4_IJiNS7_IiLi2EEENS7_IiLi64EEEEEELb0EEES1T_EEENS4_IJSJ_SL_SK_SZ_S10_EEENS4_IJSN_SZ_S10_NSI_IJLi5ELi6ELi7EEEENSI_IJLi8ELi9ELi10EEEEEEENSI_IJLi5ELi6ELi7ELi8ELi9ELi10EEEElEENS_31BlockToCTileMap_M00_N00_M01_N01ILi128ELi128ES12_Lb0EEELb0ELb0EEEvPKT0_S25_PT1_T2_T3_T4_T5_, .Lfunc_end4-_ZN2ck19kernel_gemm_dl_v1r3INS_28GridwiseGemmDl_km_kn_mn_v1r3ILi256EaiaLNS_25InMemoryDataOperationEnumE0ENS_16TensorDescriptorINS_5TupleIJNS_5EmbedINS4_IJiiEEENS4_IJNS_17integral_constantIiLi1EEEiEEELb0EEENS_7UnMergeINS4_IJiNS7_IiLi4EEEEEELb0EEENS_11PassThroughIiEEEEENS4_IJNS_8SequenceIJLi0EEEENSI_IJLi2EEEENSI_IJLi1EEEEEEENS4_IJNSI_IJLi1ELi2EEEENSI_IJLi3ELi4EEEENSI_IJLi5EEEEEEENSI_IJLi3ELi5ELi4EEEElEENS3_INS4_IJNS5_IS6_NS4_IJiS8_EEELb0EEESE_SG_EEENS4_IJSJ_SL_SK_EEESQ_SR_lEENS3_INS4_IJSU_SG_SG_EEESW_NS4_IJSN_NSI_IJLi3EEEENSI_IJLi4EEEEEEESO_lEELi128ELi128ELi16ELi4ELi4ELi4ELi1ENSI_IJLi8ELi2EEEES13_NSI_IJLi2ELi1ELi4ELi4EEEENSI_IJLi8ELi1ELi32ELi1EEEENSI_IJLi0ELi3ELi1ELi2EEEES16_NSI_IJLi1ELi1ELi4ELi1EEEES16_NSI_IJLi1ELi1ELi4ELi4EEEES14_S15_S16_S16_S17_S16_S18_NSI_IJLi0ELi1ELi2ELi3ELi4ELi5EEEELi5ELi4EEEaaNS3_INS4_IJSA_SE_SG_SG_NSB_INS4_IJiNS7_IiLi128EEEEEELb0EEENSF_ISC_EEEEENS4_IJSJ_SK_SL_SZ_SP_S10_EEENS4_IJSN_SO_SP_NSI_IJLi6EEEENSI_IJLi7ELi8EEEENSI_IJLi9EEEEEEENSI_IJLi6ELi7ELi8ELi9EEEElEENS3_INS4_IJSU_SE_SG_SG_S1D_S1E_EEENS4_IJSJ_SL_SK_SZ_SP_S10_EEES1K_S1L_lEENS3_INS4_IJSU_SG_SG_NSB_INS4_IJiNS7_IiLi2EEENS7_IiLi64EEEEEELb0EEES1T_EEENS4_IJSJ_SL_SK_SZ_S10_EEENS4_IJSN_SZ_S10_NSI_IJLi5ELi6ELi7EEEENSI_IJLi8ELi9ELi10EEEEEEENSI_IJLi5ELi6ELi7ELi8ELi9ELi10EEEElEENS_31BlockToCTileMap_M00_N00_M01_N01ILi128ELi128ES12_Lb0EEELb0ELb0EEEvPKT0_S25_PT1_T2_T3_T4_T5_
                                        ; -- End function
	.set _ZN2ck19kernel_gemm_dl_v1r3INS_28GridwiseGemmDl_km_kn_mn_v1r3ILi256EaiaLNS_25InMemoryDataOperationEnumE0ENS_16TensorDescriptorINS_5TupleIJNS_5EmbedINS4_IJiiEEENS4_IJNS_17integral_constantIiLi1EEEiEEELb0EEENS_7UnMergeINS4_IJiNS7_IiLi4EEEEEELb0EEENS_11PassThroughIiEEEEENS4_IJNS_8SequenceIJLi0EEEENSI_IJLi2EEEENSI_IJLi1EEEEEEENS4_IJNSI_IJLi1ELi2EEEENSI_IJLi3ELi4EEEENSI_IJLi5EEEEEEENSI_IJLi3ELi5ELi4EEEElEENS3_INS4_IJNS5_IS6_NS4_IJiS8_EEELb0EEESE_SG_EEENS4_IJSJ_SL_SK_EEESQ_SR_lEENS3_INS4_IJSU_SG_SG_EEESW_NS4_IJSN_NSI_IJLi3EEEENSI_IJLi4EEEEEEESO_lEELi128ELi128ELi16ELi4ELi4ELi4ELi1ENSI_IJLi8ELi2EEEES13_NSI_IJLi2ELi1ELi4ELi4EEEENSI_IJLi8ELi1ELi32ELi1EEEENSI_IJLi0ELi3ELi1ELi2EEEES16_NSI_IJLi1ELi1ELi4ELi1EEEES16_NSI_IJLi1ELi1ELi4ELi4EEEES14_S15_S16_S16_S17_S16_S18_NSI_IJLi0ELi1ELi2ELi3ELi4ELi5EEEELi5ELi4EEEaaNS3_INS4_IJSA_SE_SG_SG_NSB_INS4_IJiNS7_IiLi128EEEEEELb0EEENSF_ISC_EEEEENS4_IJSJ_SK_SL_SZ_SP_S10_EEENS4_IJSN_SO_SP_NSI_IJLi6EEEENSI_IJLi7ELi8EEEENSI_IJLi9EEEEEEENSI_IJLi6ELi7ELi8ELi9EEEElEENS3_INS4_IJSU_SE_SG_SG_S1D_S1E_EEENS4_IJSJ_SL_SK_SZ_SP_S10_EEES1K_S1L_lEENS3_INS4_IJSU_SG_SG_NSB_INS4_IJiNS7_IiLi2EEENS7_IiLi64EEEEEELb0EEES1T_EEENS4_IJSJ_SL_SK_SZ_S10_EEENS4_IJSN_SZ_S10_NSI_IJLi5ELi6ELi7EEEENSI_IJLi8ELi9ELi10EEEEEEENSI_IJLi5ELi6ELi7ELi8ELi9ELi10EEEElEENS_31BlockToCTileMap_M00_N00_M01_N01ILi128ELi128ES12_Lb0EEELb0ELb0EEEvPKT0_S25_PT1_T2_T3_T4_T5_.num_vgpr, 84
	.set _ZN2ck19kernel_gemm_dl_v1r3INS_28GridwiseGemmDl_km_kn_mn_v1r3ILi256EaiaLNS_25InMemoryDataOperationEnumE0ENS_16TensorDescriptorINS_5TupleIJNS_5EmbedINS4_IJiiEEENS4_IJNS_17integral_constantIiLi1EEEiEEELb0EEENS_7UnMergeINS4_IJiNS7_IiLi4EEEEEELb0EEENS_11PassThroughIiEEEEENS4_IJNS_8SequenceIJLi0EEEENSI_IJLi2EEEENSI_IJLi1EEEEEEENS4_IJNSI_IJLi1ELi2EEEENSI_IJLi3ELi4EEEENSI_IJLi5EEEEEEENSI_IJLi3ELi5ELi4EEEElEENS3_INS4_IJNS5_IS6_NS4_IJiS8_EEELb0EEESE_SG_EEENS4_IJSJ_SL_SK_EEESQ_SR_lEENS3_INS4_IJSU_SG_SG_EEESW_NS4_IJSN_NSI_IJLi3EEEENSI_IJLi4EEEEEEESO_lEELi128ELi128ELi16ELi4ELi4ELi4ELi1ENSI_IJLi8ELi2EEEES13_NSI_IJLi2ELi1ELi4ELi4EEEENSI_IJLi8ELi1ELi32ELi1EEEENSI_IJLi0ELi3ELi1ELi2EEEES16_NSI_IJLi1ELi1ELi4ELi1EEEES16_NSI_IJLi1ELi1ELi4ELi4EEEES14_S15_S16_S16_S17_S16_S18_NSI_IJLi0ELi1ELi2ELi3ELi4ELi5EEEELi5ELi4EEEaaNS3_INS4_IJSA_SE_SG_SG_NSB_INS4_IJiNS7_IiLi128EEEEEELb0EEENSF_ISC_EEEEENS4_IJSJ_SK_SL_SZ_SP_S10_EEENS4_IJSN_SO_SP_NSI_IJLi6EEEENSI_IJLi7ELi8EEEENSI_IJLi9EEEEEEENSI_IJLi6ELi7ELi8ELi9EEEElEENS3_INS4_IJSU_SE_SG_SG_S1D_S1E_EEENS4_IJSJ_SL_SK_SZ_SP_S10_EEES1K_S1L_lEENS3_INS4_IJSU_SG_SG_NSB_INS4_IJiNS7_IiLi2EEENS7_IiLi64EEEEEELb0EEES1T_EEENS4_IJSJ_SL_SK_SZ_S10_EEENS4_IJSN_SZ_S10_NSI_IJLi5ELi6ELi7EEEENSI_IJLi8ELi9ELi10EEEEEEENSI_IJLi5ELi6ELi7ELi8ELi9ELi10EEEElEENS_31BlockToCTileMap_M00_N00_M01_N01ILi128ELi128ES12_Lb0EEELb0ELb0EEEvPKT0_S25_PT1_T2_T3_T4_T5_.num_agpr, 0
	.set _ZN2ck19kernel_gemm_dl_v1r3INS_28GridwiseGemmDl_km_kn_mn_v1r3ILi256EaiaLNS_25InMemoryDataOperationEnumE0ENS_16TensorDescriptorINS_5TupleIJNS_5EmbedINS4_IJiiEEENS4_IJNS_17integral_constantIiLi1EEEiEEELb0EEENS_7UnMergeINS4_IJiNS7_IiLi4EEEEEELb0EEENS_11PassThroughIiEEEEENS4_IJNS_8SequenceIJLi0EEEENSI_IJLi2EEEENSI_IJLi1EEEEEEENS4_IJNSI_IJLi1ELi2EEEENSI_IJLi3ELi4EEEENSI_IJLi5EEEEEEENSI_IJLi3ELi5ELi4EEEElEENS3_INS4_IJNS5_IS6_NS4_IJiS8_EEELb0EEESE_SG_EEENS4_IJSJ_SL_SK_EEESQ_SR_lEENS3_INS4_IJSU_SG_SG_EEESW_NS4_IJSN_NSI_IJLi3EEEENSI_IJLi4EEEEEEESO_lEELi128ELi128ELi16ELi4ELi4ELi4ELi1ENSI_IJLi8ELi2EEEES13_NSI_IJLi2ELi1ELi4ELi4EEEENSI_IJLi8ELi1ELi32ELi1EEEENSI_IJLi0ELi3ELi1ELi2EEEES16_NSI_IJLi1ELi1ELi4ELi1EEEES16_NSI_IJLi1ELi1ELi4ELi4EEEES14_S15_S16_S16_S17_S16_S18_NSI_IJLi0ELi1ELi2ELi3ELi4ELi5EEEELi5ELi4EEEaaNS3_INS4_IJSA_SE_SG_SG_NSB_INS4_IJiNS7_IiLi128EEEEEELb0EEENSF_ISC_EEEEENS4_IJSJ_SK_SL_SZ_SP_S10_EEENS4_IJSN_SO_SP_NSI_IJLi6EEEENSI_IJLi7ELi8EEEENSI_IJLi9EEEEEEENSI_IJLi6ELi7ELi8ELi9EEEElEENS3_INS4_IJSU_SE_SG_SG_S1D_S1E_EEENS4_IJSJ_SL_SK_SZ_SP_S10_EEES1K_S1L_lEENS3_INS4_IJSU_SG_SG_NSB_INS4_IJiNS7_IiLi2EEENS7_IiLi64EEEEEELb0EEES1T_EEENS4_IJSJ_SL_SK_SZ_S10_EEENS4_IJSN_SZ_S10_NSI_IJLi5ELi6ELi7EEEENSI_IJLi8ELi9ELi10EEEEEEENSI_IJLi5ELi6ELi7ELi8ELi9ELi10EEEElEENS_31BlockToCTileMap_M00_N00_M01_N01ILi128ELi128ES12_Lb0EEELb0ELb0EEEvPKT0_S25_PT1_T2_T3_T4_T5_.numbered_sgpr, 40
	.set _ZN2ck19kernel_gemm_dl_v1r3INS_28GridwiseGemmDl_km_kn_mn_v1r3ILi256EaiaLNS_25InMemoryDataOperationEnumE0ENS_16TensorDescriptorINS_5TupleIJNS_5EmbedINS4_IJiiEEENS4_IJNS_17integral_constantIiLi1EEEiEEELb0EEENS_7UnMergeINS4_IJiNS7_IiLi4EEEEEELb0EEENS_11PassThroughIiEEEEENS4_IJNS_8SequenceIJLi0EEEENSI_IJLi2EEEENSI_IJLi1EEEEEEENS4_IJNSI_IJLi1ELi2EEEENSI_IJLi3ELi4EEEENSI_IJLi5EEEEEEENSI_IJLi3ELi5ELi4EEEElEENS3_INS4_IJNS5_IS6_NS4_IJiS8_EEELb0EEESE_SG_EEENS4_IJSJ_SL_SK_EEESQ_SR_lEENS3_INS4_IJSU_SG_SG_EEESW_NS4_IJSN_NSI_IJLi3EEEENSI_IJLi4EEEEEEESO_lEELi128ELi128ELi16ELi4ELi4ELi4ELi1ENSI_IJLi8ELi2EEEES13_NSI_IJLi2ELi1ELi4ELi4EEEENSI_IJLi8ELi1ELi32ELi1EEEENSI_IJLi0ELi3ELi1ELi2EEEES16_NSI_IJLi1ELi1ELi4ELi1EEEES16_NSI_IJLi1ELi1ELi4ELi4EEEES14_S15_S16_S16_S17_S16_S18_NSI_IJLi0ELi1ELi2ELi3ELi4ELi5EEEELi5ELi4EEEaaNS3_INS4_IJSA_SE_SG_SG_NSB_INS4_IJiNS7_IiLi128EEEEEELb0EEENSF_ISC_EEEEENS4_IJSJ_SK_SL_SZ_SP_S10_EEENS4_IJSN_SO_SP_NSI_IJLi6EEEENSI_IJLi7ELi8EEEENSI_IJLi9EEEEEEENSI_IJLi6ELi7ELi8ELi9EEEElEENS3_INS4_IJSU_SE_SG_SG_S1D_S1E_EEENS4_IJSJ_SL_SK_SZ_SP_S10_EEES1K_S1L_lEENS3_INS4_IJSU_SG_SG_NSB_INS4_IJiNS7_IiLi2EEENS7_IiLi64EEEEEELb0EEES1T_EEENS4_IJSJ_SL_SK_SZ_S10_EEENS4_IJSN_SZ_S10_NSI_IJLi5ELi6ELi7EEEENSI_IJLi8ELi9ELi10EEEEEEENSI_IJLi5ELi6ELi7ELi8ELi9ELi10EEEElEENS_31BlockToCTileMap_M00_N00_M01_N01ILi128ELi128ES12_Lb0EEELb0ELb0EEEvPKT0_S25_PT1_T2_T3_T4_T5_.num_named_barrier, 0
	.set _ZN2ck19kernel_gemm_dl_v1r3INS_28GridwiseGemmDl_km_kn_mn_v1r3ILi256EaiaLNS_25InMemoryDataOperationEnumE0ENS_16TensorDescriptorINS_5TupleIJNS_5EmbedINS4_IJiiEEENS4_IJNS_17integral_constantIiLi1EEEiEEELb0EEENS_7UnMergeINS4_IJiNS7_IiLi4EEEEEELb0EEENS_11PassThroughIiEEEEENS4_IJNS_8SequenceIJLi0EEEENSI_IJLi2EEEENSI_IJLi1EEEEEEENS4_IJNSI_IJLi1ELi2EEEENSI_IJLi3ELi4EEEENSI_IJLi5EEEEEEENSI_IJLi3ELi5ELi4EEEElEENS3_INS4_IJNS5_IS6_NS4_IJiS8_EEELb0EEESE_SG_EEENS4_IJSJ_SL_SK_EEESQ_SR_lEENS3_INS4_IJSU_SG_SG_EEESW_NS4_IJSN_NSI_IJLi3EEEENSI_IJLi4EEEEEEESO_lEELi128ELi128ELi16ELi4ELi4ELi4ELi1ENSI_IJLi8ELi2EEEES13_NSI_IJLi2ELi1ELi4ELi4EEEENSI_IJLi8ELi1ELi32ELi1EEEENSI_IJLi0ELi3ELi1ELi2EEEES16_NSI_IJLi1ELi1ELi4ELi1EEEES16_NSI_IJLi1ELi1ELi4ELi4EEEES14_S15_S16_S16_S17_S16_S18_NSI_IJLi0ELi1ELi2ELi3ELi4ELi5EEEELi5ELi4EEEaaNS3_INS4_IJSA_SE_SG_SG_NSB_INS4_IJiNS7_IiLi128EEEEEELb0EEENSF_ISC_EEEEENS4_IJSJ_SK_SL_SZ_SP_S10_EEENS4_IJSN_SO_SP_NSI_IJLi6EEEENSI_IJLi7ELi8EEEENSI_IJLi9EEEEEEENSI_IJLi6ELi7ELi8ELi9EEEElEENS3_INS4_IJSU_SE_SG_SG_S1D_S1E_EEENS4_IJSJ_SL_SK_SZ_SP_S10_EEES1K_S1L_lEENS3_INS4_IJSU_SG_SG_NSB_INS4_IJiNS7_IiLi2EEENS7_IiLi64EEEEEELb0EEES1T_EEENS4_IJSJ_SL_SK_SZ_S10_EEENS4_IJSN_SZ_S10_NSI_IJLi5ELi6ELi7EEEENSI_IJLi8ELi9ELi10EEEEEEENSI_IJLi5ELi6ELi7ELi8ELi9ELi10EEEElEENS_31BlockToCTileMap_M00_N00_M01_N01ILi128ELi128ES12_Lb0EEELb0ELb0EEEvPKT0_S25_PT1_T2_T3_T4_T5_.private_seg_size, 0
	.set _ZN2ck19kernel_gemm_dl_v1r3INS_28GridwiseGemmDl_km_kn_mn_v1r3ILi256EaiaLNS_25InMemoryDataOperationEnumE0ENS_16TensorDescriptorINS_5TupleIJNS_5EmbedINS4_IJiiEEENS4_IJNS_17integral_constantIiLi1EEEiEEELb0EEENS_7UnMergeINS4_IJiNS7_IiLi4EEEEEELb0EEENS_11PassThroughIiEEEEENS4_IJNS_8SequenceIJLi0EEEENSI_IJLi2EEEENSI_IJLi1EEEEEEENS4_IJNSI_IJLi1ELi2EEEENSI_IJLi3ELi4EEEENSI_IJLi5EEEEEEENSI_IJLi3ELi5ELi4EEEElEENS3_INS4_IJNS5_IS6_NS4_IJiS8_EEELb0EEESE_SG_EEENS4_IJSJ_SL_SK_EEESQ_SR_lEENS3_INS4_IJSU_SG_SG_EEESW_NS4_IJSN_NSI_IJLi3EEEENSI_IJLi4EEEEEEESO_lEELi128ELi128ELi16ELi4ELi4ELi4ELi1ENSI_IJLi8ELi2EEEES13_NSI_IJLi2ELi1ELi4ELi4EEEENSI_IJLi8ELi1ELi32ELi1EEEENSI_IJLi0ELi3ELi1ELi2EEEES16_NSI_IJLi1ELi1ELi4ELi1EEEES16_NSI_IJLi1ELi1ELi4ELi4EEEES14_S15_S16_S16_S17_S16_S18_NSI_IJLi0ELi1ELi2ELi3ELi4ELi5EEEELi5ELi4EEEaaNS3_INS4_IJSA_SE_SG_SG_NSB_INS4_IJiNS7_IiLi128EEEEEELb0EEENSF_ISC_EEEEENS4_IJSJ_SK_SL_SZ_SP_S10_EEENS4_IJSN_SO_SP_NSI_IJLi6EEEENSI_IJLi7ELi8EEEENSI_IJLi9EEEEEEENSI_IJLi6ELi7ELi8ELi9EEEElEENS3_INS4_IJSU_SE_SG_SG_S1D_S1E_EEENS4_IJSJ_SL_SK_SZ_SP_S10_EEES1K_S1L_lEENS3_INS4_IJSU_SG_SG_NSB_INS4_IJiNS7_IiLi2EEENS7_IiLi64EEEEEELb0EEES1T_EEENS4_IJSJ_SL_SK_SZ_S10_EEENS4_IJSN_SZ_S10_NSI_IJLi5ELi6ELi7EEEENSI_IJLi8ELi9ELi10EEEEEEENSI_IJLi5ELi6ELi7ELi8ELi9ELi10EEEElEENS_31BlockToCTileMap_M00_N00_M01_N01ILi128ELi128ES12_Lb0EEELb0ELb0EEEvPKT0_S25_PT1_T2_T3_T4_T5_.uses_vcc, 0
	.set _ZN2ck19kernel_gemm_dl_v1r3INS_28GridwiseGemmDl_km_kn_mn_v1r3ILi256EaiaLNS_25InMemoryDataOperationEnumE0ENS_16TensorDescriptorINS_5TupleIJNS_5EmbedINS4_IJiiEEENS4_IJNS_17integral_constantIiLi1EEEiEEELb0EEENS_7UnMergeINS4_IJiNS7_IiLi4EEEEEELb0EEENS_11PassThroughIiEEEEENS4_IJNS_8SequenceIJLi0EEEENSI_IJLi2EEEENSI_IJLi1EEEEEEENS4_IJNSI_IJLi1ELi2EEEENSI_IJLi3ELi4EEEENSI_IJLi5EEEEEEENSI_IJLi3ELi5ELi4EEEElEENS3_INS4_IJNS5_IS6_NS4_IJiS8_EEELb0EEESE_SG_EEENS4_IJSJ_SL_SK_EEESQ_SR_lEENS3_INS4_IJSU_SG_SG_EEESW_NS4_IJSN_NSI_IJLi3EEEENSI_IJLi4EEEEEEESO_lEELi128ELi128ELi16ELi4ELi4ELi4ELi1ENSI_IJLi8ELi2EEEES13_NSI_IJLi2ELi1ELi4ELi4EEEENSI_IJLi8ELi1ELi32ELi1EEEENSI_IJLi0ELi3ELi1ELi2EEEES16_NSI_IJLi1ELi1ELi4ELi1EEEES16_NSI_IJLi1ELi1ELi4ELi4EEEES14_S15_S16_S16_S17_S16_S18_NSI_IJLi0ELi1ELi2ELi3ELi4ELi5EEEELi5ELi4EEEaaNS3_INS4_IJSA_SE_SG_SG_NSB_INS4_IJiNS7_IiLi128EEEEEELb0EEENSF_ISC_EEEEENS4_IJSJ_SK_SL_SZ_SP_S10_EEENS4_IJSN_SO_SP_NSI_IJLi6EEEENSI_IJLi7ELi8EEEENSI_IJLi9EEEEEEENSI_IJLi6ELi7ELi8ELi9EEEElEENS3_INS4_IJSU_SE_SG_SG_S1D_S1E_EEENS4_IJSJ_SL_SK_SZ_SP_S10_EEES1K_S1L_lEENS3_INS4_IJSU_SG_SG_NSB_INS4_IJiNS7_IiLi2EEENS7_IiLi64EEEEEELb0EEES1T_EEENS4_IJSJ_SL_SK_SZ_S10_EEENS4_IJSN_SZ_S10_NSI_IJLi5ELi6ELi7EEEENSI_IJLi8ELi9ELi10EEEEEEENSI_IJLi5ELi6ELi7ELi8ELi9ELi10EEEElEENS_31BlockToCTileMap_M00_N00_M01_N01ILi128ELi128ES12_Lb0EEELb0ELb0EEEvPKT0_S25_PT1_T2_T3_T4_T5_.uses_flat_scratch, 0
	.set _ZN2ck19kernel_gemm_dl_v1r3INS_28GridwiseGemmDl_km_kn_mn_v1r3ILi256EaiaLNS_25InMemoryDataOperationEnumE0ENS_16TensorDescriptorINS_5TupleIJNS_5EmbedINS4_IJiiEEENS4_IJNS_17integral_constantIiLi1EEEiEEELb0EEENS_7UnMergeINS4_IJiNS7_IiLi4EEEEEELb0EEENS_11PassThroughIiEEEEENS4_IJNS_8SequenceIJLi0EEEENSI_IJLi2EEEENSI_IJLi1EEEEEEENS4_IJNSI_IJLi1ELi2EEEENSI_IJLi3ELi4EEEENSI_IJLi5EEEEEEENSI_IJLi3ELi5ELi4EEEElEENS3_INS4_IJNS5_IS6_NS4_IJiS8_EEELb0EEESE_SG_EEENS4_IJSJ_SL_SK_EEESQ_SR_lEENS3_INS4_IJSU_SG_SG_EEESW_NS4_IJSN_NSI_IJLi3EEEENSI_IJLi4EEEEEEESO_lEELi128ELi128ELi16ELi4ELi4ELi4ELi1ENSI_IJLi8ELi2EEEES13_NSI_IJLi2ELi1ELi4ELi4EEEENSI_IJLi8ELi1ELi32ELi1EEEENSI_IJLi0ELi3ELi1ELi2EEEES16_NSI_IJLi1ELi1ELi4ELi1EEEES16_NSI_IJLi1ELi1ELi4ELi4EEEES14_S15_S16_S16_S17_S16_S18_NSI_IJLi0ELi1ELi2ELi3ELi4ELi5EEEELi5ELi4EEEaaNS3_INS4_IJSA_SE_SG_SG_NSB_INS4_IJiNS7_IiLi128EEEEEELb0EEENSF_ISC_EEEEENS4_IJSJ_SK_SL_SZ_SP_S10_EEENS4_IJSN_SO_SP_NSI_IJLi6EEEENSI_IJLi7ELi8EEEENSI_IJLi9EEEEEEENSI_IJLi6ELi7ELi8ELi9EEEElEENS3_INS4_IJSU_SE_SG_SG_S1D_S1E_EEENS4_IJSJ_SL_SK_SZ_SP_S10_EEES1K_S1L_lEENS3_INS4_IJSU_SG_SG_NSB_INS4_IJiNS7_IiLi2EEENS7_IiLi64EEEEEELb0EEES1T_EEENS4_IJSJ_SL_SK_SZ_S10_EEENS4_IJSN_SZ_S10_NSI_IJLi5ELi6ELi7EEEENSI_IJLi8ELi9ELi10EEEEEEENSI_IJLi5ELi6ELi7ELi8ELi9ELi10EEEElEENS_31BlockToCTileMap_M00_N00_M01_N01ILi128ELi128ES12_Lb0EEELb0ELb0EEEvPKT0_S25_PT1_T2_T3_T4_T5_.has_dyn_sized_stack, 0
	.set _ZN2ck19kernel_gemm_dl_v1r3INS_28GridwiseGemmDl_km_kn_mn_v1r3ILi256EaiaLNS_25InMemoryDataOperationEnumE0ENS_16TensorDescriptorINS_5TupleIJNS_5EmbedINS4_IJiiEEENS4_IJNS_17integral_constantIiLi1EEEiEEELb0EEENS_7UnMergeINS4_IJiNS7_IiLi4EEEEEELb0EEENS_11PassThroughIiEEEEENS4_IJNS_8SequenceIJLi0EEEENSI_IJLi2EEEENSI_IJLi1EEEEEEENS4_IJNSI_IJLi1ELi2EEEENSI_IJLi3ELi4EEEENSI_IJLi5EEEEEEENSI_IJLi3ELi5ELi4EEEElEENS3_INS4_IJNS5_IS6_NS4_IJiS8_EEELb0EEESE_SG_EEENS4_IJSJ_SL_SK_EEESQ_SR_lEENS3_INS4_IJSU_SG_SG_EEESW_NS4_IJSN_NSI_IJLi3EEEENSI_IJLi4EEEEEEESO_lEELi128ELi128ELi16ELi4ELi4ELi4ELi1ENSI_IJLi8ELi2EEEES13_NSI_IJLi2ELi1ELi4ELi4EEEENSI_IJLi8ELi1ELi32ELi1EEEENSI_IJLi0ELi3ELi1ELi2EEEES16_NSI_IJLi1ELi1ELi4ELi1EEEES16_NSI_IJLi1ELi1ELi4ELi4EEEES14_S15_S16_S16_S17_S16_S18_NSI_IJLi0ELi1ELi2ELi3ELi4ELi5EEEELi5ELi4EEEaaNS3_INS4_IJSA_SE_SG_SG_NSB_INS4_IJiNS7_IiLi128EEEEEELb0EEENSF_ISC_EEEEENS4_IJSJ_SK_SL_SZ_SP_S10_EEENS4_IJSN_SO_SP_NSI_IJLi6EEEENSI_IJLi7ELi8EEEENSI_IJLi9EEEEEEENSI_IJLi6ELi7ELi8ELi9EEEElEENS3_INS4_IJSU_SE_SG_SG_S1D_S1E_EEENS4_IJSJ_SL_SK_SZ_SP_S10_EEES1K_S1L_lEENS3_INS4_IJSU_SG_SG_NSB_INS4_IJiNS7_IiLi2EEENS7_IiLi64EEEEEELb0EEES1T_EEENS4_IJSJ_SL_SK_SZ_S10_EEENS4_IJSN_SZ_S10_NSI_IJLi5ELi6ELi7EEEENSI_IJLi8ELi9ELi10EEEEEEENSI_IJLi5ELi6ELi7ELi8ELi9ELi10EEEElEENS_31BlockToCTileMap_M00_N00_M01_N01ILi128ELi128ES12_Lb0EEELb0ELb0EEEvPKT0_S25_PT1_T2_T3_T4_T5_.has_recursion, 0
	.set _ZN2ck19kernel_gemm_dl_v1r3INS_28GridwiseGemmDl_km_kn_mn_v1r3ILi256EaiaLNS_25InMemoryDataOperationEnumE0ENS_16TensorDescriptorINS_5TupleIJNS_5EmbedINS4_IJiiEEENS4_IJNS_17integral_constantIiLi1EEEiEEELb0EEENS_7UnMergeINS4_IJiNS7_IiLi4EEEEEELb0EEENS_11PassThroughIiEEEEENS4_IJNS_8SequenceIJLi0EEEENSI_IJLi2EEEENSI_IJLi1EEEEEEENS4_IJNSI_IJLi1ELi2EEEENSI_IJLi3ELi4EEEENSI_IJLi5EEEEEEENSI_IJLi3ELi5ELi4EEEElEENS3_INS4_IJNS5_IS6_NS4_IJiS8_EEELb0EEESE_SG_EEENS4_IJSJ_SL_SK_EEESQ_SR_lEENS3_INS4_IJSU_SG_SG_EEESW_NS4_IJSN_NSI_IJLi3EEEENSI_IJLi4EEEEEEESO_lEELi128ELi128ELi16ELi4ELi4ELi4ELi1ENSI_IJLi8ELi2EEEES13_NSI_IJLi2ELi1ELi4ELi4EEEENSI_IJLi8ELi1ELi32ELi1EEEENSI_IJLi0ELi3ELi1ELi2EEEES16_NSI_IJLi1ELi1ELi4ELi1EEEES16_NSI_IJLi1ELi1ELi4ELi4EEEES14_S15_S16_S16_S17_S16_S18_NSI_IJLi0ELi1ELi2ELi3ELi4ELi5EEEELi5ELi4EEEaaNS3_INS4_IJSA_SE_SG_SG_NSB_INS4_IJiNS7_IiLi128EEEEEELb0EEENSF_ISC_EEEEENS4_IJSJ_SK_SL_SZ_SP_S10_EEENS4_IJSN_SO_SP_NSI_IJLi6EEEENSI_IJLi7ELi8EEEENSI_IJLi9EEEEEEENSI_IJLi6ELi7ELi8ELi9EEEElEENS3_INS4_IJSU_SE_SG_SG_S1D_S1E_EEENS4_IJSJ_SL_SK_SZ_SP_S10_EEES1K_S1L_lEENS3_INS4_IJSU_SG_SG_NSB_INS4_IJiNS7_IiLi2EEENS7_IiLi64EEEEEELb0EEES1T_EEENS4_IJSJ_SL_SK_SZ_S10_EEENS4_IJSN_SZ_S10_NSI_IJLi5ELi6ELi7EEEENSI_IJLi8ELi9ELi10EEEEEEENSI_IJLi5ELi6ELi7ELi8ELi9ELi10EEEElEENS_31BlockToCTileMap_M00_N00_M01_N01ILi128ELi128ES12_Lb0EEELb0ELb0EEEvPKT0_S25_PT1_T2_T3_T4_T5_.has_indirect_call, 0
	.section	.AMDGPU.csdata,"",@progbits
; Kernel info:
; codeLenInByte = 6968
; TotalNumSgprs: 46
; NumVgprs: 84
; NumAgprs: 0
; TotalNumVgprs: 84
; ScratchSize: 0
; MemoryBound: 0
; FloatMode: 240
; IeeeMode: 1
; LDSByteSize: 32768 bytes/workgroup (compile time only)
; SGPRBlocks: 12
; VGPRBlocks: 10
; NumSGPRsForWavesPerEU: 102
; NumVGPRsForWavesPerEU: 84
; AccumOffset: 84
; Occupancy: 5
; WaveLimiterHint : 0
; COMPUTE_PGM_RSRC2:SCRATCH_EN: 0
; COMPUTE_PGM_RSRC2:USER_SGPR: 2
; COMPUTE_PGM_RSRC2:TRAP_HANDLER: 0
; COMPUTE_PGM_RSRC2:TGID_X_EN: 1
; COMPUTE_PGM_RSRC2:TGID_Y_EN: 0
; COMPUTE_PGM_RSRC2:TGID_Z_EN: 0
; COMPUTE_PGM_RSRC2:TIDIG_COMP_CNT: 0
; COMPUTE_PGM_RSRC3_GFX90A:ACCUM_OFFSET: 20
; COMPUTE_PGM_RSRC3_GFX90A:TG_SPLIT: 0
	.section	.text._ZN2ck17naive_gemm_kernelINS_13tensor_layout4gemm11ColumnMajorENS2_8RowMajorES4_aaaiNS_16tensor_operation12element_wise11PassThroughES7_S7_aaEEvPKT2_PKT3_PT4_iiiT6_T7_T8_,"axG",@progbits,_ZN2ck17naive_gemm_kernelINS_13tensor_layout4gemm11ColumnMajorENS2_8RowMajorES4_aaaiNS_16tensor_operation12element_wise11PassThroughES7_S7_aaEEvPKT2_PKT3_PT4_iiiT6_T7_T8_,comdat
	.protected	_ZN2ck17naive_gemm_kernelINS_13tensor_layout4gemm11ColumnMajorENS2_8RowMajorES4_aaaiNS_16tensor_operation12element_wise11PassThroughES7_S7_aaEEvPKT2_PKT3_PT4_iiiT6_T7_T8_ ; -- Begin function _ZN2ck17naive_gemm_kernelINS_13tensor_layout4gemm11ColumnMajorENS2_8RowMajorES4_aaaiNS_16tensor_operation12element_wise11PassThroughES7_S7_aaEEvPKT2_PKT3_PT4_iiiT6_T7_T8_
	.globl	_ZN2ck17naive_gemm_kernelINS_13tensor_layout4gemm11ColumnMajorENS2_8RowMajorES4_aaaiNS_16tensor_operation12element_wise11PassThroughES7_S7_aaEEvPKT2_PKT3_PT4_iiiT6_T7_T8_
	.p2align	8
	.type	_ZN2ck17naive_gemm_kernelINS_13tensor_layout4gemm11ColumnMajorENS2_8RowMajorES4_aaaiNS_16tensor_operation12element_wise11PassThroughES7_S7_aaEEvPKT2_PKT3_PT4_iiiT6_T7_T8_,@function
_ZN2ck17naive_gemm_kernelINS_13tensor_layout4gemm11ColumnMajorENS2_8RowMajorES4_aaaiNS_16tensor_operation12element_wise11PassThroughES7_S7_aaEEvPKT2_PKT3_PT4_iiiT6_T7_T8_: ; @_ZN2ck17naive_gemm_kernelINS_13tensor_layout4gemm11ColumnMajorENS2_8RowMajorES4_aaaiNS_16tensor_operation12element_wise11PassThroughES7_S7_aaEEvPKT2_PKT3_PT4_iiiT6_T7_T8_
; %bb.0:
	s_load_dword s8, s[0:1], 0x34
	s_load_dwordx4 s[4:7], s[0:1], 0x18
	v_and_b32_e32 v6, 0x3ff, v0
	v_bfe_u32 v7, v0, 10, 10
	s_waitcnt lgkmcnt(0)
	s_lshr_b32 s9, s8, 16
	s_and_b32 s7, s8, 0xffff
	s_mul_i32 s7, s2, s7
	s_mul_i32 s14, s3, s9
	v_add_u32_e32 v1, s7, v6
	v_add_u32_e32 v0, s14, v7
	v_cmp_gt_i32_e32 vcc, s4, v1
	v_cmp_gt_i32_e64 s[2:3], s5, v0
	s_and_b64 s[2:3], vcc, s[2:3]
	s_and_saveexec_b64 s[8:9], s[2:3]
	s_cbranch_execz .LBB5_15
; %bb.1:
	s_cmp_lt_i32 s6, 1
	s_cbranch_scc1 .LBB5_7
; %bb.2:
	s_load_dwordx4 s[8:11], s[0:1], 0x0
	s_cmp_lt_u32 s6, 6
	s_cselect_b64 s[12:13], -1, 0
	s_and_b64 vcc, exec, s[12:13]
	s_cbranch_vccnz .LBB5_8
; %bb.3:
	s_cmp_eq_u32 s4, 1
	s_cselect_b64 s[12:13], -1, 0
	s_add_i32 s2, s6, -1
	s_cmp_eq_u32 s5, 1
	v_add_u32_e32 v2, s2, v1
	s_cselect_b64 s[16:17], -1, 0
	v_cmp_ge_i32_e32 vcc, v2, v1
	v_add_u32_e32 v2, s2, v0
	s_and_b64 s[12:13], s[12:13], s[16:17]
	v_cmp_ge_i32_e64 s[2:3], v2, v0
	s_and_b64 s[12:13], s[12:13], vcc
	s_and_b64 s[16:17], s[12:13], s[2:3]
	s_mov_b64 s[12:13], -1
	v_mov_b32_e32 v8, 0
	v_mov_b32_e32 v3, 0
	s_and_saveexec_b64 s[2:3], s[16:17]
	s_cbranch_execz .LBB5_9
; %bb.4:
	s_and_b32 s12, s6, 0x7ffffffe
	v_mov_b32_e32 v8, 0
	v_mov_b32_e32 v2, v1
	;; [unrolled: 1-line block ×3, first 2 shown]
	s_mov_b32 s13, s12
	v_mov_b32_e32 v9, 0
.LBB5_5:                                ; =>This Inner Loop Header: Depth=1
	v_ashrrev_i32_e32 v3, 31, v2
	s_waitcnt lgkmcnt(0)
	v_lshl_add_u64 v[10:11], s[8:9], 0, v[2:3]
	v_ashrrev_i32_e32 v5, 31, v4
	global_load_ushort v3, v[10:11], off
	v_lshl_add_u64 v[10:11], s[10:11], 0, v[4:5]
	global_load_ushort v5, v[10:11], off
	s_add_i32 s13, s13, -2
	v_add_u32_e32 v4, 2, v4
	s_cmp_lg_u32 s13, 0
	v_add_u32_e32 v2, 2, v2
	s_waitcnt vmcnt(1)
	v_and_b32_e32 v10, 0xff, v3
	v_lshrrev_b16_e32 v3, 8, v3
	s_waitcnt vmcnt(0)
	v_and_b32_e32 v11, 0xff, v5
	v_lshrrev_b16_e32 v5, 8, v5
	v_mad_u32_u24 v9, v5, v3, v9
	v_mad_u32_u24 v8, v11, v10, v8
	s_cbranch_scc1 .LBB5_5
; %bb.6:
	s_cmp_lg_u32 s6, s12
	s_cselect_b64 s[16:17], -1, 0
	v_add_u32_e32 v8, v8, v9
	v_mov_b32_e32 v3, s12
	s_orn2_b64 s[12:13], s[16:17], exec
	s_or_b64 exec, exec, s[2:3]
	s_and_saveexec_b64 s[2:3], s[12:13]
	s_cbranch_execnz .LBB5_10
	s_branch .LBB5_13
.LBB5_7:
	v_mov_b32_e32 v8, 0
	s_branch .LBB5_14
.LBB5_8:
	v_mov_b32_e32 v8, 0
	v_mov_b32_e32 v3, 0
	s_and_saveexec_b64 s[2:3], s[12:13]
	s_cbranch_execnz .LBB5_10
	s_branch .LBB5_13
.LBB5_9:
	s_or_b64 exec, exec, s[2:3]
	s_and_saveexec_b64 s[2:3], s[12:13]
	s_cbranch_execz .LBB5_13
.LBB5_10:
	v_sub_u32_e32 v9, s6, v3
	v_mul_lo_u32 v2, v3, s5
	v_mul_lo_u32 v3, v3, s4
	v_add3_u32 v2, v7, v2, s14
	v_add3_u32 v4, v6, v3, s7
	s_mov_b64 s[6:7], 0
.LBB5_11:                               ; =>This Inner Loop Header: Depth=1
	v_ashrrev_i32_e32 v5, 31, v4
	s_waitcnt lgkmcnt(0)
	v_lshl_add_u64 v[6:7], s[8:9], 0, v[4:5]
	v_ashrrev_i32_e32 v3, 31, v2
	global_load_ubyte v5, v[6:7], off
	v_lshl_add_u64 v[6:7], s[10:11], 0, v[2:3]
	global_load_ubyte v3, v[6:7], off
	v_add_u32_e32 v9, -1, v9
	v_cmp_eq_u32_e32 vcc, 0, v9
	v_add_u32_e32 v2, s5, v2
	s_or_b64 s[6:7], vcc, s[6:7]
	v_add_u32_e32 v4, s4, v4
	s_waitcnt vmcnt(0)
	v_mad_u32_u24 v8, v3, v5, v8
	s_andn2_b64 exec, exec, s[6:7]
	s_cbranch_execnz .LBB5_11
; %bb.12:
	s_or_b64 exec, exec, s[6:7]
.LBB5_13:
	s_or_b64 exec, exec, s[2:3]
.LBB5_14:
	s_load_dwordx2 s[0:1], s[0:1], 0x10
	v_mad_u64_u32 v[0:1], s[2:3], v1, s5, v[0:1]
	v_ashrrev_i32_e32 v1, 31, v0
	s_waitcnt lgkmcnt(0)
	v_lshl_add_u64 v[0:1], s[0:1], 0, v[0:1]
	global_store_byte v[0:1], v8, off
.LBB5_15:
	s_endpgm
	.section	.rodata,"a",@progbits
	.p2align	6, 0x0
	.amdhsa_kernel _ZN2ck17naive_gemm_kernelINS_13tensor_layout4gemm11ColumnMajorENS2_8RowMajorES4_aaaiNS_16tensor_operation12element_wise11PassThroughES7_S7_aaEEvPKT2_PKT3_PT4_iiiT6_T7_T8_
		.amdhsa_group_segment_fixed_size 0
		.amdhsa_private_segment_fixed_size 0
		.amdhsa_kernarg_size 296
		.amdhsa_user_sgpr_count 2
		.amdhsa_user_sgpr_dispatch_ptr 0
		.amdhsa_user_sgpr_queue_ptr 0
		.amdhsa_user_sgpr_kernarg_segment_ptr 1
		.amdhsa_user_sgpr_dispatch_id 0
		.amdhsa_user_sgpr_kernarg_preload_length 0
		.amdhsa_user_sgpr_kernarg_preload_offset 0
		.amdhsa_user_sgpr_private_segment_size 0
		.amdhsa_uses_dynamic_stack 0
		.amdhsa_enable_private_segment 0
		.amdhsa_system_sgpr_workgroup_id_x 1
		.amdhsa_system_sgpr_workgroup_id_y 1
		.amdhsa_system_sgpr_workgroup_id_z 0
		.amdhsa_system_sgpr_workgroup_info 0
		.amdhsa_system_vgpr_workitem_id 1
		.amdhsa_next_free_vgpr 12
		.amdhsa_next_free_sgpr 18
		.amdhsa_accum_offset 12
		.amdhsa_reserve_vcc 1
		.amdhsa_float_round_mode_32 0
		.amdhsa_float_round_mode_16_64 0
		.amdhsa_float_denorm_mode_32 3
		.amdhsa_float_denorm_mode_16_64 3
		.amdhsa_dx10_clamp 1
		.amdhsa_ieee_mode 1
		.amdhsa_fp16_overflow 0
		.amdhsa_tg_split 0
		.amdhsa_exception_fp_ieee_invalid_op 0
		.amdhsa_exception_fp_denorm_src 0
		.amdhsa_exception_fp_ieee_div_zero 0
		.amdhsa_exception_fp_ieee_overflow 0
		.amdhsa_exception_fp_ieee_underflow 0
		.amdhsa_exception_fp_ieee_inexact 0
		.amdhsa_exception_int_div_zero 0
	.end_amdhsa_kernel
	.section	.text._ZN2ck17naive_gemm_kernelINS_13tensor_layout4gemm11ColumnMajorENS2_8RowMajorES4_aaaiNS_16tensor_operation12element_wise11PassThroughES7_S7_aaEEvPKT2_PKT3_PT4_iiiT6_T7_T8_,"axG",@progbits,_ZN2ck17naive_gemm_kernelINS_13tensor_layout4gemm11ColumnMajorENS2_8RowMajorES4_aaaiNS_16tensor_operation12element_wise11PassThroughES7_S7_aaEEvPKT2_PKT3_PT4_iiiT6_T7_T8_,comdat
.Lfunc_end5:
	.size	_ZN2ck17naive_gemm_kernelINS_13tensor_layout4gemm11ColumnMajorENS2_8RowMajorES4_aaaiNS_16tensor_operation12element_wise11PassThroughES7_S7_aaEEvPKT2_PKT3_PT4_iiiT6_T7_T8_, .Lfunc_end5-_ZN2ck17naive_gemm_kernelINS_13tensor_layout4gemm11ColumnMajorENS2_8RowMajorES4_aaaiNS_16tensor_operation12element_wise11PassThroughES7_S7_aaEEvPKT2_PKT3_PT4_iiiT6_T7_T8_
                                        ; -- End function
	.set _ZN2ck17naive_gemm_kernelINS_13tensor_layout4gemm11ColumnMajorENS2_8RowMajorES4_aaaiNS_16tensor_operation12element_wise11PassThroughES7_S7_aaEEvPKT2_PKT3_PT4_iiiT6_T7_T8_.num_vgpr, 12
	.set _ZN2ck17naive_gemm_kernelINS_13tensor_layout4gemm11ColumnMajorENS2_8RowMajorES4_aaaiNS_16tensor_operation12element_wise11PassThroughES7_S7_aaEEvPKT2_PKT3_PT4_iiiT6_T7_T8_.num_agpr, 0
	.set _ZN2ck17naive_gemm_kernelINS_13tensor_layout4gemm11ColumnMajorENS2_8RowMajorES4_aaaiNS_16tensor_operation12element_wise11PassThroughES7_S7_aaEEvPKT2_PKT3_PT4_iiiT6_T7_T8_.numbered_sgpr, 18
	.set _ZN2ck17naive_gemm_kernelINS_13tensor_layout4gemm11ColumnMajorENS2_8RowMajorES4_aaaiNS_16tensor_operation12element_wise11PassThroughES7_S7_aaEEvPKT2_PKT3_PT4_iiiT6_T7_T8_.num_named_barrier, 0
	.set _ZN2ck17naive_gemm_kernelINS_13tensor_layout4gemm11ColumnMajorENS2_8RowMajorES4_aaaiNS_16tensor_operation12element_wise11PassThroughES7_S7_aaEEvPKT2_PKT3_PT4_iiiT6_T7_T8_.private_seg_size, 0
	.set _ZN2ck17naive_gemm_kernelINS_13tensor_layout4gemm11ColumnMajorENS2_8RowMajorES4_aaaiNS_16tensor_operation12element_wise11PassThroughES7_S7_aaEEvPKT2_PKT3_PT4_iiiT6_T7_T8_.uses_vcc, 1
	.set _ZN2ck17naive_gemm_kernelINS_13tensor_layout4gemm11ColumnMajorENS2_8RowMajorES4_aaaiNS_16tensor_operation12element_wise11PassThroughES7_S7_aaEEvPKT2_PKT3_PT4_iiiT6_T7_T8_.uses_flat_scratch, 0
	.set _ZN2ck17naive_gemm_kernelINS_13tensor_layout4gemm11ColumnMajorENS2_8RowMajorES4_aaaiNS_16tensor_operation12element_wise11PassThroughES7_S7_aaEEvPKT2_PKT3_PT4_iiiT6_T7_T8_.has_dyn_sized_stack, 0
	.set _ZN2ck17naive_gemm_kernelINS_13tensor_layout4gemm11ColumnMajorENS2_8RowMajorES4_aaaiNS_16tensor_operation12element_wise11PassThroughES7_S7_aaEEvPKT2_PKT3_PT4_iiiT6_T7_T8_.has_recursion, 0
	.set _ZN2ck17naive_gemm_kernelINS_13tensor_layout4gemm11ColumnMajorENS2_8RowMajorES4_aaaiNS_16tensor_operation12element_wise11PassThroughES7_S7_aaEEvPKT2_PKT3_PT4_iiiT6_T7_T8_.has_indirect_call, 0
	.section	.AMDGPU.csdata,"",@progbits
; Kernel info:
; codeLenInByte = 584
; TotalNumSgprs: 24
; NumVgprs: 12
; NumAgprs: 0
; TotalNumVgprs: 12
; ScratchSize: 0
; MemoryBound: 0
; FloatMode: 240
; IeeeMode: 1
; LDSByteSize: 0 bytes/workgroup (compile time only)
; SGPRBlocks: 2
; VGPRBlocks: 1
; NumSGPRsForWavesPerEU: 24
; NumVGPRsForWavesPerEU: 12
; AccumOffset: 12
; Occupancy: 8
; WaveLimiterHint : 0
; COMPUTE_PGM_RSRC2:SCRATCH_EN: 0
; COMPUTE_PGM_RSRC2:USER_SGPR: 2
; COMPUTE_PGM_RSRC2:TRAP_HANDLER: 0
; COMPUTE_PGM_RSRC2:TGID_X_EN: 1
; COMPUTE_PGM_RSRC2:TGID_Y_EN: 1
; COMPUTE_PGM_RSRC2:TGID_Z_EN: 0
; COMPUTE_PGM_RSRC2:TIDIG_COMP_CNT: 1
; COMPUTE_PGM_RSRC3_GFX90A:ACCUM_OFFSET: 2
; COMPUTE_PGM_RSRC3_GFX90A:TG_SPLIT: 0
	.section	.AMDGPU.gpr_maximums,"",@progbits
	.set amdgpu.max_num_vgpr, 0
	.set amdgpu.max_num_agpr, 0
	.set amdgpu.max_num_sgpr, 0
	.section	.AMDGPU.csdata,"",@progbits
	.type	__hip_cuid_ee19191c33d6d177,@object ; @__hip_cuid_ee19191c33d6d177
	.section	.bss,"aw",@nobits
	.globl	__hip_cuid_ee19191c33d6d177
__hip_cuid_ee19191c33d6d177:
	.byte	0                               ; 0x0
	.size	__hip_cuid_ee19191c33d6d177, 1

	.ident	"AMD clang version 22.0.0git (https://github.com/RadeonOpenCompute/llvm-project roc-7.2.4 26084 f58b06dce1f9c15707c5f808fd002e18c2accf7e)"
	.section	".note.GNU-stack","",@progbits
	.addrsig
	.addrsig_sym __hip_cuid_ee19191c33d6d177
	.amdgpu_metadata
---
amdhsa.kernels:
  - .agpr_count:     0
    .args:           []
    .group_segment_fixed_size: 0
    .kernarg_segment_align: 4
    .kernarg_segment_size: 0
    .language:       OpenCL C
    .language_version:
      - 2
      - 0
    .max_flat_workgroup_size: 1024
    .name:           _ZN2ckL12flush_icacheEv
    .private_segment_fixed_size: 0
    .sgpr_count:     6
    .sgpr_spill_count: 0
    .symbol:         _ZN2ckL12flush_icacheEv.kd
    .uniform_work_group_size: 1
    .uses_dynamic_stack: false
    .vgpr_count:     0
    .vgpr_spill_count: 0
    .wavefront_size: 64
  - .agpr_count:     0
    .args:
      - .actual_access:  read_only
        .address_space:  global
        .offset:         0
        .size:           8
        .value_kind:     global_buffer
      - .actual_access:  read_only
        .address_space:  global
        .offset:         8
        .size:           8
        .value_kind:     global_buffer
      - .actual_access:  write_only
        .address_space:  global
        .offset:         16
        .size:           8
        .value_kind:     global_buffer
      - .offset:         24
        .size:           64
        .value_kind:     by_value
      - .offset:         88
        .size:           64
        .value_kind:     by_value
      - .offset:         152
        .size:           64
        .value_kind:     by_value
      - .offset:         216
        .size:           112
        .value_kind:     by_value
    .group_segment_fixed_size: 32768
    .kernarg_segment_align: 8
    .kernarg_segment_size: 328
    .language:       OpenCL C
    .language_version:
      - 2
      - 0
    .max_flat_workgroup_size: 256
    .name:           _ZN2ck19kernel_gemm_dl_v1r3INS_28GridwiseGemmDl_km_kn_mn_v1r3ILi256EaiaLNS_25InMemoryDataOperationEnumE0ENS_16TensorDescriptorINS_5TupleIJNS_5EmbedINS4_IJiiEEENS4_IJNS_17integral_constantIiLi1EEEiEEELb0EEENS_7UnMergeINS4_IJiNS7_IiLi4EEEEEELb0EEENS_11PassThroughIiEEEEENS4_IJNS_8SequenceIJLi0EEEENSI_IJLi2EEEENSI_IJLi1EEEEEEENS4_IJNSI_IJLi1ELi2EEEENSI_IJLi3ELi4EEEENSI_IJLi5EEEEEEENSI_IJLi3ELi5ELi4EEEElEENS3_INS4_IJNS5_IS6_NS4_IJiS8_EEELb0EEESE_SG_EEENS4_IJSJ_SL_SK_EEESQ_SR_lEENS3_INS4_IJSU_SG_SG_EEESW_NS4_IJSN_NSI_IJLi3EEEENSI_IJLi4EEEEEEESO_lEELi128ELi128ELi16ELi4ELi4ELi4ELi1ENSI_IJLi8ELi2EEEES13_NSI_IJLi2ELi1ELi4ELi4EEEENSI_IJLi8ELi1ELi32ELi1EEEENSI_IJLi0ELi3ELi1ELi2EEEES16_NSI_IJLi1ELi1ELi4ELi1EEEES16_NSI_IJLi1ELi1ELi4ELi4EEEES14_S15_S16_S16_S17_S16_S18_NSI_IJLi0ELi1ELi2ELi3ELi4ELi5EEEELi5ELi4EEEaaNS3_INS4_IJSA_SE_SG_SG_NSB_INS4_IJiNS7_IiLi128EEEEEELb0EEENSF_ISC_EEEEENS4_IJSJ_SK_SL_SZ_SP_S10_EEENS4_IJSN_SO_SP_NSI_IJLi6EEEENSI_IJLi7ELi8EEEENSI_IJLi9EEEEEEENSI_IJLi6ELi7ELi8ELi9EEEElEENS3_INS4_IJSU_SE_SG_SG_S1D_S1E_EEENS4_IJSJ_SL_SK_SZ_SP_S10_EEES1K_S1L_lEENS3_INS4_IJSU_SG_SG_NSB_INS4_IJiNS7_IiLi2EEENS7_IiLi64EEEEEELb0EEES1T_EEENS4_IJSJ_SL_SK_SZ_S10_EEENS4_IJSN_SZ_S10_NSI_IJLi5ELi6ELi7EEEENSI_IJLi8ELi9ELi10EEEEEEENSI_IJLi5ELi6ELi7ELi8ELi9ELi10EEEElEENS_31BlockToCTileMap_M00_N00_M01_N01ILi128ELi128ES12_Lb0EEELb1ELb1EEEvPKT0_S25_PT1_T2_T3_T4_T5_
    .private_segment_fixed_size: 0
    .sgpr_count:     50
    .sgpr_spill_count: 0
    .symbol:         _ZN2ck19kernel_gemm_dl_v1r3INS_28GridwiseGemmDl_km_kn_mn_v1r3ILi256EaiaLNS_25InMemoryDataOperationEnumE0ENS_16TensorDescriptorINS_5TupleIJNS_5EmbedINS4_IJiiEEENS4_IJNS_17integral_constantIiLi1EEEiEEELb0EEENS_7UnMergeINS4_IJiNS7_IiLi4EEEEEELb0EEENS_11PassThroughIiEEEEENS4_IJNS_8SequenceIJLi0EEEENSI_IJLi2EEEENSI_IJLi1EEEEEEENS4_IJNSI_IJLi1ELi2EEEENSI_IJLi3ELi4EEEENSI_IJLi5EEEEEEENSI_IJLi3ELi5ELi4EEEElEENS3_INS4_IJNS5_IS6_NS4_IJiS8_EEELb0EEESE_SG_EEENS4_IJSJ_SL_SK_EEESQ_SR_lEENS3_INS4_IJSU_SG_SG_EEESW_NS4_IJSN_NSI_IJLi3EEEENSI_IJLi4EEEEEEESO_lEELi128ELi128ELi16ELi4ELi4ELi4ELi1ENSI_IJLi8ELi2EEEES13_NSI_IJLi2ELi1ELi4ELi4EEEENSI_IJLi8ELi1ELi32ELi1EEEENSI_IJLi0ELi3ELi1ELi2EEEES16_NSI_IJLi1ELi1ELi4ELi1EEEES16_NSI_IJLi1ELi1ELi4ELi4EEEES14_S15_S16_S16_S17_S16_S18_NSI_IJLi0ELi1ELi2ELi3ELi4ELi5EEEELi5ELi4EEEaaNS3_INS4_IJSA_SE_SG_SG_NSB_INS4_IJiNS7_IiLi128EEEEEELb0EEENSF_ISC_EEEEENS4_IJSJ_SK_SL_SZ_SP_S10_EEENS4_IJSN_SO_SP_NSI_IJLi6EEEENSI_IJLi7ELi8EEEENSI_IJLi9EEEEEEENSI_IJLi6ELi7ELi8ELi9EEEElEENS3_INS4_IJSU_SE_SG_SG_S1D_S1E_EEENS4_IJSJ_SL_SK_SZ_SP_S10_EEES1K_S1L_lEENS3_INS4_IJSU_SG_SG_NSB_INS4_IJiNS7_IiLi2EEENS7_IiLi64EEEEEELb0EEES1T_EEENS4_IJSJ_SL_SK_SZ_S10_EEENS4_IJSN_SZ_S10_NSI_IJLi5ELi6ELi7EEEENSI_IJLi8ELi9ELi10EEEEEEENSI_IJLi5ELi6ELi7ELi8ELi9ELi10EEEElEENS_31BlockToCTileMap_M00_N00_M01_N01ILi128ELi128ES12_Lb0EEELb1ELb1EEEvPKT0_S25_PT1_T2_T3_T4_T5_.kd
    .uniform_work_group_size: 1
    .uses_dynamic_stack: false
    .vgpr_count:     148
    .vgpr_spill_count: 0
    .wavefront_size: 64
  - .agpr_count:     0
    .args:
      - .actual_access:  read_only
        .address_space:  global
        .offset:         0
        .size:           8
        .value_kind:     global_buffer
      - .actual_access:  read_only
        .address_space:  global
        .offset:         8
        .size:           8
        .value_kind:     global_buffer
      - .actual_access:  write_only
        .address_space:  global
        .offset:         16
        .size:           8
        .value_kind:     global_buffer
      - .offset:         24
        .size:           64
        .value_kind:     by_value
      - .offset:         88
        .size:           64
        .value_kind:     by_value
      - .offset:         152
        .size:           64
        .value_kind:     by_value
      - .offset:         216
        .size:           112
        .value_kind:     by_value
    .group_segment_fixed_size: 32768
    .kernarg_segment_align: 8
    .kernarg_segment_size: 328
    .language:       OpenCL C
    .language_version:
      - 2
      - 0
    .max_flat_workgroup_size: 256
    .name:           _ZN2ck19kernel_gemm_dl_v1r3INS_28GridwiseGemmDl_km_kn_mn_v1r3ILi256EaiaLNS_25InMemoryDataOperationEnumE0ENS_16TensorDescriptorINS_5TupleIJNS_5EmbedINS4_IJiiEEENS4_IJNS_17integral_constantIiLi1EEEiEEELb0EEENS_7UnMergeINS4_IJiNS7_IiLi4EEEEEELb0EEENS_11PassThroughIiEEEEENS4_IJNS_8SequenceIJLi0EEEENSI_IJLi2EEEENSI_IJLi1EEEEEEENS4_IJNSI_IJLi1ELi2EEEENSI_IJLi3ELi4EEEENSI_IJLi5EEEEEEENSI_IJLi3ELi5ELi4EEEElEENS3_INS4_IJNS5_IS6_NS4_IJiS8_EEELb0EEESE_SG_EEENS4_IJSJ_SL_SK_EEESQ_SR_lEENS3_INS4_IJSU_SG_SG_EEESW_NS4_IJSN_NSI_IJLi3EEEENSI_IJLi4EEEEEEESO_lEELi128ELi128ELi16ELi4ELi4ELi4ELi1ENSI_IJLi8ELi2EEEES13_NSI_IJLi2ELi1ELi4ELi4EEEENSI_IJLi8ELi1ELi32ELi1EEEENSI_IJLi0ELi3ELi1ELi2EEEES16_NSI_IJLi1ELi1ELi4ELi1EEEES16_NSI_IJLi1ELi1ELi4ELi4EEEES14_S15_S16_S16_S17_S16_S18_NSI_IJLi0ELi1ELi2ELi3ELi4ELi5EEEELi5ELi4EEEaaNS3_INS4_IJSA_SE_SG_SG_NSB_INS4_IJiNS7_IiLi128EEEEEELb0EEENSF_ISC_EEEEENS4_IJSJ_SK_SL_SZ_SP_S10_EEENS4_IJSN_SO_SP_NSI_IJLi6EEEENSI_IJLi7ELi8EEEENSI_IJLi9EEEEEEENSI_IJLi6ELi7ELi8ELi9EEEElEENS3_INS4_IJSU_SE_SG_SG_S1D_S1E_EEENS4_IJSJ_SL_SK_SZ_SP_S10_EEES1K_S1L_lEENS3_INS4_IJSU_SG_SG_NSB_INS4_IJiNS7_IiLi2EEENS7_IiLi64EEEEEELb0EEES1T_EEENS4_IJSJ_SL_SK_SZ_S10_EEENS4_IJSN_SZ_S10_NSI_IJLi5ELi6ELi7EEEENSI_IJLi8ELi9ELi10EEEEEEENSI_IJLi5ELi6ELi7ELi8ELi9ELi10EEEElEENS_31BlockToCTileMap_M00_N00_M01_N01ILi128ELi128ES12_Lb0EEELb1ELb0EEEvPKT0_S25_PT1_T2_T3_T4_T5_
    .private_segment_fixed_size: 0
    .sgpr_count:     46
    .sgpr_spill_count: 0
    .symbol:         _ZN2ck19kernel_gemm_dl_v1r3INS_28GridwiseGemmDl_km_kn_mn_v1r3ILi256EaiaLNS_25InMemoryDataOperationEnumE0ENS_16TensorDescriptorINS_5TupleIJNS_5EmbedINS4_IJiiEEENS4_IJNS_17integral_constantIiLi1EEEiEEELb0EEENS_7UnMergeINS4_IJiNS7_IiLi4EEEEEELb0EEENS_11PassThroughIiEEEEENS4_IJNS_8SequenceIJLi0EEEENSI_IJLi2EEEENSI_IJLi1EEEEEEENS4_IJNSI_IJLi1ELi2EEEENSI_IJLi3ELi4EEEENSI_IJLi5EEEEEEENSI_IJLi3ELi5ELi4EEEElEENS3_INS4_IJNS5_IS6_NS4_IJiS8_EEELb0EEESE_SG_EEENS4_IJSJ_SL_SK_EEESQ_SR_lEENS3_INS4_IJSU_SG_SG_EEESW_NS4_IJSN_NSI_IJLi3EEEENSI_IJLi4EEEEEEESO_lEELi128ELi128ELi16ELi4ELi4ELi4ELi1ENSI_IJLi8ELi2EEEES13_NSI_IJLi2ELi1ELi4ELi4EEEENSI_IJLi8ELi1ELi32ELi1EEEENSI_IJLi0ELi3ELi1ELi2EEEES16_NSI_IJLi1ELi1ELi4ELi1EEEES16_NSI_IJLi1ELi1ELi4ELi4EEEES14_S15_S16_S16_S17_S16_S18_NSI_IJLi0ELi1ELi2ELi3ELi4ELi5EEEELi5ELi4EEEaaNS3_INS4_IJSA_SE_SG_SG_NSB_INS4_IJiNS7_IiLi128EEEEEELb0EEENSF_ISC_EEEEENS4_IJSJ_SK_SL_SZ_SP_S10_EEENS4_IJSN_SO_SP_NSI_IJLi6EEEENSI_IJLi7ELi8EEEENSI_IJLi9EEEEEEENSI_IJLi6ELi7ELi8ELi9EEEElEENS3_INS4_IJSU_SE_SG_SG_S1D_S1E_EEENS4_IJSJ_SL_SK_SZ_SP_S10_EEES1K_S1L_lEENS3_INS4_IJSU_SG_SG_NSB_INS4_IJiNS7_IiLi2EEENS7_IiLi64EEEEEELb0EEES1T_EEENS4_IJSJ_SL_SK_SZ_S10_EEENS4_IJSN_SZ_S10_NSI_IJLi5ELi6ELi7EEEENSI_IJLi8ELi9ELi10EEEEEEENSI_IJLi5ELi6ELi7ELi8ELi9ELi10EEEElEENS_31BlockToCTileMap_M00_N00_M01_N01ILi128ELi128ES12_Lb0EEELb1ELb0EEEvPKT0_S25_PT1_T2_T3_T4_T5_.kd
    .uniform_work_group_size: 1
    .uses_dynamic_stack: false
    .vgpr_count:     140
    .vgpr_spill_count: 0
    .wavefront_size: 64
  - .agpr_count:     0
    .args:
      - .actual_access:  read_only
        .address_space:  global
        .offset:         0
        .size:           8
        .value_kind:     global_buffer
      - .actual_access:  read_only
        .address_space:  global
        .offset:         8
        .size:           8
        .value_kind:     global_buffer
      - .actual_access:  write_only
        .address_space:  global
        .offset:         16
        .size:           8
        .value_kind:     global_buffer
      - .offset:         24
        .size:           64
        .value_kind:     by_value
      - .offset:         88
        .size:           64
        .value_kind:     by_value
      - .offset:         152
        .size:           64
        .value_kind:     by_value
      - .offset:         216
        .size:           112
        .value_kind:     by_value
    .group_segment_fixed_size: 32768
    .kernarg_segment_align: 8
    .kernarg_segment_size: 328
    .language:       OpenCL C
    .language_version:
      - 2
      - 0
    .max_flat_workgroup_size: 256
    .name:           _ZN2ck19kernel_gemm_dl_v1r3INS_28GridwiseGemmDl_km_kn_mn_v1r3ILi256EaiaLNS_25InMemoryDataOperationEnumE0ENS_16TensorDescriptorINS_5TupleIJNS_5EmbedINS4_IJiiEEENS4_IJNS_17integral_constantIiLi1EEEiEEELb0EEENS_7UnMergeINS4_IJiNS7_IiLi4EEEEEELb0EEENS_11PassThroughIiEEEEENS4_IJNS_8SequenceIJLi0EEEENSI_IJLi2EEEENSI_IJLi1EEEEEEENS4_IJNSI_IJLi1ELi2EEEENSI_IJLi3ELi4EEEENSI_IJLi5EEEEEEENSI_IJLi3ELi5ELi4EEEElEENS3_INS4_IJNS5_IS6_NS4_IJiS8_EEELb0EEESE_SG_EEENS4_IJSJ_SL_SK_EEESQ_SR_lEENS3_INS4_IJSU_SG_SG_EEESW_NS4_IJSN_NSI_IJLi3EEEENSI_IJLi4EEEEEEESO_lEELi128ELi128ELi16ELi4ELi4ELi4ELi1ENSI_IJLi8ELi2EEEES13_NSI_IJLi2ELi1ELi4ELi4EEEENSI_IJLi8ELi1ELi32ELi1EEEENSI_IJLi0ELi3ELi1ELi2EEEES16_NSI_IJLi1ELi1ELi4ELi1EEEES16_NSI_IJLi1ELi1ELi4ELi4EEEES14_S15_S16_S16_S17_S16_S18_NSI_IJLi0ELi1ELi2ELi3ELi4ELi5EEEELi5ELi4EEEaaNS3_INS4_IJSA_SE_SG_SG_NSB_INS4_IJiNS7_IiLi128EEEEEELb0EEENSF_ISC_EEEEENS4_IJSJ_SK_SL_SZ_SP_S10_EEENS4_IJSN_SO_SP_NSI_IJLi6EEEENSI_IJLi7ELi8EEEENSI_IJLi9EEEEEEENSI_IJLi6ELi7ELi8ELi9EEEElEENS3_INS4_IJSU_SE_SG_SG_S1D_S1E_EEENS4_IJSJ_SL_SK_SZ_SP_S10_EEES1K_S1L_lEENS3_INS4_IJSU_SG_SG_NSB_INS4_IJiNS7_IiLi2EEENS7_IiLi64EEEEEELb0EEES1T_EEENS4_IJSJ_SL_SK_SZ_S10_EEENS4_IJSN_SZ_S10_NSI_IJLi5ELi6ELi7EEEENSI_IJLi8ELi9ELi10EEEEEEENSI_IJLi5ELi6ELi7ELi8ELi9ELi10EEEElEENS_31BlockToCTileMap_M00_N00_M01_N01ILi128ELi128ES12_Lb0EEELb0ELb1EEEvPKT0_S25_PT1_T2_T3_T4_T5_
    .private_segment_fixed_size: 0
    .sgpr_count:     46
    .sgpr_spill_count: 0
    .symbol:         _ZN2ck19kernel_gemm_dl_v1r3INS_28GridwiseGemmDl_km_kn_mn_v1r3ILi256EaiaLNS_25InMemoryDataOperationEnumE0ENS_16TensorDescriptorINS_5TupleIJNS_5EmbedINS4_IJiiEEENS4_IJNS_17integral_constantIiLi1EEEiEEELb0EEENS_7UnMergeINS4_IJiNS7_IiLi4EEEEEELb0EEENS_11PassThroughIiEEEEENS4_IJNS_8SequenceIJLi0EEEENSI_IJLi2EEEENSI_IJLi1EEEEEEENS4_IJNSI_IJLi1ELi2EEEENSI_IJLi3ELi4EEEENSI_IJLi5EEEEEEENSI_IJLi3ELi5ELi4EEEElEENS3_INS4_IJNS5_IS6_NS4_IJiS8_EEELb0EEESE_SG_EEENS4_IJSJ_SL_SK_EEESQ_SR_lEENS3_INS4_IJSU_SG_SG_EEESW_NS4_IJSN_NSI_IJLi3EEEENSI_IJLi4EEEEEEESO_lEELi128ELi128ELi16ELi4ELi4ELi4ELi1ENSI_IJLi8ELi2EEEES13_NSI_IJLi2ELi1ELi4ELi4EEEENSI_IJLi8ELi1ELi32ELi1EEEENSI_IJLi0ELi3ELi1ELi2EEEES16_NSI_IJLi1ELi1ELi4ELi1EEEES16_NSI_IJLi1ELi1ELi4ELi4EEEES14_S15_S16_S16_S17_S16_S18_NSI_IJLi0ELi1ELi2ELi3ELi4ELi5EEEELi5ELi4EEEaaNS3_INS4_IJSA_SE_SG_SG_NSB_INS4_IJiNS7_IiLi128EEEEEELb0EEENSF_ISC_EEEEENS4_IJSJ_SK_SL_SZ_SP_S10_EEENS4_IJSN_SO_SP_NSI_IJLi6EEEENSI_IJLi7ELi8EEEENSI_IJLi9EEEEEEENSI_IJLi6ELi7ELi8ELi9EEEElEENS3_INS4_IJSU_SE_SG_SG_S1D_S1E_EEENS4_IJSJ_SL_SK_SZ_SP_S10_EEES1K_S1L_lEENS3_INS4_IJSU_SG_SG_NSB_INS4_IJiNS7_IiLi2EEENS7_IiLi64EEEEEELb0EEES1T_EEENS4_IJSJ_SL_SK_SZ_S10_EEENS4_IJSN_SZ_S10_NSI_IJLi5ELi6ELi7EEEENSI_IJLi8ELi9ELi10EEEEEEENSI_IJLi5ELi6ELi7ELi8ELi9ELi10EEEElEENS_31BlockToCTileMap_M00_N00_M01_N01ILi128ELi128ES12_Lb0EEELb0ELb1EEEvPKT0_S25_PT1_T2_T3_T4_T5_.kd
    .uniform_work_group_size: 1
    .uses_dynamic_stack: false
    .vgpr_count:     98
    .vgpr_spill_count: 0
    .wavefront_size: 64
  - .agpr_count:     0
    .args:
      - .actual_access:  read_only
        .address_space:  global
        .offset:         0
        .size:           8
        .value_kind:     global_buffer
      - .actual_access:  read_only
        .address_space:  global
        .offset:         8
        .size:           8
        .value_kind:     global_buffer
      - .actual_access:  write_only
        .address_space:  global
        .offset:         16
        .size:           8
        .value_kind:     global_buffer
      - .offset:         24
        .size:           64
        .value_kind:     by_value
      - .offset:         88
        .size:           64
        .value_kind:     by_value
      - .offset:         152
        .size:           64
        .value_kind:     by_value
      - .offset:         216
        .size:           112
        .value_kind:     by_value
    .group_segment_fixed_size: 32768
    .kernarg_segment_align: 8
    .kernarg_segment_size: 328
    .language:       OpenCL C
    .language_version:
      - 2
      - 0
    .max_flat_workgroup_size: 256
    .name:           _ZN2ck19kernel_gemm_dl_v1r3INS_28GridwiseGemmDl_km_kn_mn_v1r3ILi256EaiaLNS_25InMemoryDataOperationEnumE0ENS_16TensorDescriptorINS_5TupleIJNS_5EmbedINS4_IJiiEEENS4_IJNS_17integral_constantIiLi1EEEiEEELb0EEENS_7UnMergeINS4_IJiNS7_IiLi4EEEEEELb0EEENS_11PassThroughIiEEEEENS4_IJNS_8SequenceIJLi0EEEENSI_IJLi2EEEENSI_IJLi1EEEEEEENS4_IJNSI_IJLi1ELi2EEEENSI_IJLi3ELi4EEEENSI_IJLi5EEEEEEENSI_IJLi3ELi5ELi4EEEElEENS3_INS4_IJNS5_IS6_NS4_IJiS8_EEELb0EEESE_SG_EEENS4_IJSJ_SL_SK_EEESQ_SR_lEENS3_INS4_IJSU_SG_SG_EEESW_NS4_IJSN_NSI_IJLi3EEEENSI_IJLi4EEEEEEESO_lEELi128ELi128ELi16ELi4ELi4ELi4ELi1ENSI_IJLi8ELi2EEEES13_NSI_IJLi2ELi1ELi4ELi4EEEENSI_IJLi8ELi1ELi32ELi1EEEENSI_IJLi0ELi3ELi1ELi2EEEES16_NSI_IJLi1ELi1ELi4ELi1EEEES16_NSI_IJLi1ELi1ELi4ELi4EEEES14_S15_S16_S16_S17_S16_S18_NSI_IJLi0ELi1ELi2ELi3ELi4ELi5EEEELi5ELi4EEEaaNS3_INS4_IJSA_SE_SG_SG_NSB_INS4_IJiNS7_IiLi128EEEEEELb0EEENSF_ISC_EEEEENS4_IJSJ_SK_SL_SZ_SP_S10_EEENS4_IJSN_SO_SP_NSI_IJLi6EEEENSI_IJLi7ELi8EEEENSI_IJLi9EEEEEEENSI_IJLi6ELi7ELi8ELi9EEEElEENS3_INS4_IJSU_SE_SG_SG_S1D_S1E_EEENS4_IJSJ_SL_SK_SZ_SP_S10_EEES1K_S1L_lEENS3_INS4_IJSU_SG_SG_NSB_INS4_IJiNS7_IiLi2EEENS7_IiLi64EEEEEELb0EEES1T_EEENS4_IJSJ_SL_SK_SZ_S10_EEENS4_IJSN_SZ_S10_NSI_IJLi5ELi6ELi7EEEENSI_IJLi8ELi9ELi10EEEEEEENSI_IJLi5ELi6ELi7ELi8ELi9ELi10EEEElEENS_31BlockToCTileMap_M00_N00_M01_N01ILi128ELi128ES12_Lb0EEELb0ELb0EEEvPKT0_S25_PT1_T2_T3_T4_T5_
    .private_segment_fixed_size: 0
    .sgpr_count:     46
    .sgpr_spill_count: 0
    .symbol:         _ZN2ck19kernel_gemm_dl_v1r3INS_28GridwiseGemmDl_km_kn_mn_v1r3ILi256EaiaLNS_25InMemoryDataOperationEnumE0ENS_16TensorDescriptorINS_5TupleIJNS_5EmbedINS4_IJiiEEENS4_IJNS_17integral_constantIiLi1EEEiEEELb0EEENS_7UnMergeINS4_IJiNS7_IiLi4EEEEEELb0EEENS_11PassThroughIiEEEEENS4_IJNS_8SequenceIJLi0EEEENSI_IJLi2EEEENSI_IJLi1EEEEEEENS4_IJNSI_IJLi1ELi2EEEENSI_IJLi3ELi4EEEENSI_IJLi5EEEEEEENSI_IJLi3ELi5ELi4EEEElEENS3_INS4_IJNS5_IS6_NS4_IJiS8_EEELb0EEESE_SG_EEENS4_IJSJ_SL_SK_EEESQ_SR_lEENS3_INS4_IJSU_SG_SG_EEESW_NS4_IJSN_NSI_IJLi3EEEENSI_IJLi4EEEEEEESO_lEELi128ELi128ELi16ELi4ELi4ELi4ELi1ENSI_IJLi8ELi2EEEES13_NSI_IJLi2ELi1ELi4ELi4EEEENSI_IJLi8ELi1ELi32ELi1EEEENSI_IJLi0ELi3ELi1ELi2EEEES16_NSI_IJLi1ELi1ELi4ELi1EEEES16_NSI_IJLi1ELi1ELi4ELi4EEEES14_S15_S16_S16_S17_S16_S18_NSI_IJLi0ELi1ELi2ELi3ELi4ELi5EEEELi5ELi4EEEaaNS3_INS4_IJSA_SE_SG_SG_NSB_INS4_IJiNS7_IiLi128EEEEEELb0EEENSF_ISC_EEEEENS4_IJSJ_SK_SL_SZ_SP_S10_EEENS4_IJSN_SO_SP_NSI_IJLi6EEEENSI_IJLi7ELi8EEEENSI_IJLi9EEEEEEENSI_IJLi6ELi7ELi8ELi9EEEElEENS3_INS4_IJSU_SE_SG_SG_S1D_S1E_EEENS4_IJSJ_SL_SK_SZ_SP_S10_EEES1K_S1L_lEENS3_INS4_IJSU_SG_SG_NSB_INS4_IJiNS7_IiLi2EEENS7_IiLi64EEEEEELb0EEES1T_EEENS4_IJSJ_SL_SK_SZ_S10_EEENS4_IJSN_SZ_S10_NSI_IJLi5ELi6ELi7EEEENSI_IJLi8ELi9ELi10EEEEEEENSI_IJLi5ELi6ELi7ELi8ELi9ELi10EEEElEENS_31BlockToCTileMap_M00_N00_M01_N01ILi128ELi128ES12_Lb0EEELb0ELb0EEEvPKT0_S25_PT1_T2_T3_T4_T5_.kd
    .uniform_work_group_size: 1
    .uses_dynamic_stack: false
    .vgpr_count:     84
    .vgpr_spill_count: 0
    .wavefront_size: 64
  - .agpr_count:     0
    .args:
      - .actual_access:  read_only
        .address_space:  global
        .offset:         0
        .size:           8
        .value_kind:     global_buffer
      - .actual_access:  read_only
        .address_space:  global
        .offset:         8
        .size:           8
        .value_kind:     global_buffer
      - .actual_access:  write_only
        .address_space:  global
        .offset:         16
        .size:           8
        .value_kind:     global_buffer
      - .offset:         24
        .size:           4
        .value_kind:     by_value
      - .offset:         28
        .size:           4
        .value_kind:     by_value
      - .offset:         32
        .size:           4
        .value_kind:     by_value
      - .offset:         36
        .size:           1
        .value_kind:     by_value
      - .offset:         37
        .size:           1
        .value_kind:     by_value
      - .offset:         38
        .size:           1
        .value_kind:     by_value
      - .offset:         40
        .size:           4
        .value_kind:     hidden_block_count_x
      - .offset:         44
        .size:           4
        .value_kind:     hidden_block_count_y
      - .offset:         48
        .size:           4
        .value_kind:     hidden_block_count_z
      - .offset:         52
        .size:           2
        .value_kind:     hidden_group_size_x
      - .offset:         54
        .size:           2
        .value_kind:     hidden_group_size_y
      - .offset:         56
        .size:           2
        .value_kind:     hidden_group_size_z
      - .offset:         58
        .size:           2
        .value_kind:     hidden_remainder_x
      - .offset:         60
        .size:           2
        .value_kind:     hidden_remainder_y
      - .offset:         62
        .size:           2
        .value_kind:     hidden_remainder_z
      - .offset:         80
        .size:           8
        .value_kind:     hidden_global_offset_x
      - .offset:         88
        .size:           8
        .value_kind:     hidden_global_offset_y
      - .offset:         96
        .size:           8
        .value_kind:     hidden_global_offset_z
      - .offset:         104
        .size:           2
        .value_kind:     hidden_grid_dims
    .group_segment_fixed_size: 0
    .kernarg_segment_align: 8
    .kernarg_segment_size: 296
    .language:       OpenCL C
    .language_version:
      - 2
      - 0
    .max_flat_workgroup_size: 256
    .name:           _ZN2ck17naive_gemm_kernelINS_13tensor_layout4gemm11ColumnMajorENS2_8RowMajorES4_aaaiNS_16tensor_operation12element_wise11PassThroughES7_S7_aaEEvPKT2_PKT3_PT4_iiiT6_T7_T8_
    .private_segment_fixed_size: 0
    .sgpr_count:     24
    .sgpr_spill_count: 0
    .symbol:         _ZN2ck17naive_gemm_kernelINS_13tensor_layout4gemm11ColumnMajorENS2_8RowMajorES4_aaaiNS_16tensor_operation12element_wise11PassThroughES7_S7_aaEEvPKT2_PKT3_PT4_iiiT6_T7_T8_.kd
    .uniform_work_group_size: 1
    .uses_dynamic_stack: false
    .vgpr_count:     12
    .vgpr_spill_count: 0
    .wavefront_size: 64
amdhsa.target:   amdgcn-amd-amdhsa--gfx950
amdhsa.version:
  - 1
  - 2
...

	.end_amdgpu_metadata
